;; amdgpu-corpus repo=ROCm/rocFFT kind=compiled arch=gfx906 opt=O3
	.text
	.amdgcn_target "amdgcn-amd-amdhsa--gfx906"
	.amdhsa_code_object_version 6
	.protected	fft_rtc_fwd_len1904_factors_17_2_2_7_4_wgs_119_tpt_119_halfLds_dp_op_CI_CI_unitstride_sbrr_C2R_dirReg ; -- Begin function fft_rtc_fwd_len1904_factors_17_2_2_7_4_wgs_119_tpt_119_halfLds_dp_op_CI_CI_unitstride_sbrr_C2R_dirReg
	.globl	fft_rtc_fwd_len1904_factors_17_2_2_7_4_wgs_119_tpt_119_halfLds_dp_op_CI_CI_unitstride_sbrr_C2R_dirReg
	.p2align	8
	.type	fft_rtc_fwd_len1904_factors_17_2_2_7_4_wgs_119_tpt_119_halfLds_dp_op_CI_CI_unitstride_sbrr_C2R_dirReg,@function
fft_rtc_fwd_len1904_factors_17_2_2_7_4_wgs_119_tpt_119_halfLds_dp_op_CI_CI_unitstride_sbrr_C2R_dirReg: ; @fft_rtc_fwd_len1904_factors_17_2_2_7_4_wgs_119_tpt_119_halfLds_dp_op_CI_CI_unitstride_sbrr_C2R_dirReg
; %bb.0:
	s_load_dwordx4 s[8:11], s[4:5], 0x58
	s_load_dwordx4 s[12:15], s[4:5], 0x0
	;; [unrolled: 1-line block ×3, first 2 shown]
	s_mov_b64 s[62:63], s[2:3]
	s_mov_b64 s[60:61], s[0:1]
	v_mul_u32_u24_e32 v1, 0x227, v0
	s_waitcnt lgkmcnt(0)
	v_cmp_lt_u64_e64 s[0:1], s[14:15], 2
	s_add_u32 s60, s60, s7
	v_add_u32_sdwa v5, s6, v1 dst_sel:DWORD dst_unused:UNUSED_PAD src0_sel:DWORD src1_sel:WORD_1
	v_mov_b32_e32 v3, 0
	v_mov_b32_e32 v1, 0
	s_addc_u32 s61, s61, 0
	v_mov_b32_e32 v6, v3
	s_and_b64 vcc, exec, s[0:1]
	v_mov_b32_e32 v2, 0
	s_cbranch_vccnz .LBB0_8
; %bb.1:
	s_load_dwordx2 s[0:1], s[4:5], 0x10
	s_add_u32 s2, s18, 8
	s_addc_u32 s3, s19, 0
	s_add_u32 s6, s16, 8
	v_mov_b32_e32 v1, 0
	s_addc_u32 s7, s17, 0
	v_mov_b32_e32 v2, 0
	s_waitcnt lgkmcnt(0)
	s_add_u32 s20, s0, 8
	v_mov_b32_e32 v109, v2
	s_addc_u32 s21, s1, 0
	s_mov_b64 s[22:23], 1
	v_mov_b32_e32 v108, v1
.LBB0_2:                                ; =>This Inner Loop Header: Depth=1
	s_load_dwordx2 s[24:25], s[20:21], 0x0
                                        ; implicit-def: $vgpr112_vgpr113
	s_waitcnt lgkmcnt(0)
	v_or_b32_e32 v4, s25, v6
	v_cmp_ne_u64_e32 vcc, 0, v[3:4]
	s_and_saveexec_b64 s[0:1], vcc
	s_xor_b64 s[26:27], exec, s[0:1]
	s_cbranch_execz .LBB0_4
; %bb.3:                                ;   in Loop: Header=BB0_2 Depth=1
	v_cvt_f32_u32_e32 v4, s24
	v_cvt_f32_u32_e32 v7, s25
	s_sub_u32 s0, 0, s24
	s_subb_u32 s1, 0, s25
	v_mac_f32_e32 v4, 0x4f800000, v7
	v_rcp_f32_e32 v4, v4
	v_mul_f32_e32 v4, 0x5f7ffffc, v4
	v_mul_f32_e32 v7, 0x2f800000, v4
	v_trunc_f32_e32 v7, v7
	v_mac_f32_e32 v4, 0xcf800000, v7
	v_cvt_u32_f32_e32 v7, v7
	v_cvt_u32_f32_e32 v4, v4
	v_mul_lo_u32 v8, s0, v7
	v_mul_hi_u32 v9, s0, v4
	v_mul_lo_u32 v11, s1, v4
	v_mul_lo_u32 v10, s0, v4
	v_add_u32_e32 v8, v9, v8
	v_add_u32_e32 v8, v8, v11
	v_mul_hi_u32 v9, v4, v10
	v_mul_lo_u32 v11, v4, v8
	v_mul_hi_u32 v13, v4, v8
	v_mul_hi_u32 v12, v7, v10
	v_mul_lo_u32 v10, v7, v10
	v_mul_hi_u32 v14, v7, v8
	v_add_co_u32_e32 v9, vcc, v9, v11
	v_addc_co_u32_e32 v11, vcc, 0, v13, vcc
	v_mul_lo_u32 v8, v7, v8
	v_add_co_u32_e32 v9, vcc, v9, v10
	v_addc_co_u32_e32 v9, vcc, v11, v12, vcc
	v_addc_co_u32_e32 v10, vcc, 0, v14, vcc
	v_add_co_u32_e32 v8, vcc, v9, v8
	v_addc_co_u32_e32 v9, vcc, 0, v10, vcc
	v_add_co_u32_e32 v4, vcc, v4, v8
	v_addc_co_u32_e32 v7, vcc, v7, v9, vcc
	v_mul_lo_u32 v8, s0, v7
	v_mul_hi_u32 v9, s0, v4
	v_mul_lo_u32 v10, s1, v4
	v_mul_lo_u32 v11, s0, v4
	v_add_u32_e32 v8, v9, v8
	v_add_u32_e32 v8, v8, v10
	v_mul_lo_u32 v12, v4, v8
	v_mul_hi_u32 v13, v4, v11
	v_mul_hi_u32 v14, v4, v8
	;; [unrolled: 1-line block ×3, first 2 shown]
	v_mul_lo_u32 v11, v7, v11
	v_mul_hi_u32 v9, v7, v8
	v_add_co_u32_e32 v12, vcc, v13, v12
	v_addc_co_u32_e32 v13, vcc, 0, v14, vcc
	v_mul_lo_u32 v8, v7, v8
	v_add_co_u32_e32 v11, vcc, v12, v11
	v_addc_co_u32_e32 v10, vcc, v13, v10, vcc
	v_addc_co_u32_e32 v9, vcc, 0, v9, vcc
	v_add_co_u32_e32 v8, vcc, v10, v8
	v_addc_co_u32_e32 v9, vcc, 0, v9, vcc
	v_add_co_u32_e32 v4, vcc, v4, v8
	v_addc_co_u32_e32 v9, vcc, v7, v9, vcc
	v_mad_u64_u32 v[7:8], s[0:1], v5, v9, 0
	v_mul_hi_u32 v10, v5, v4
	v_add_co_u32_e32 v11, vcc, v10, v7
	v_addc_co_u32_e32 v12, vcc, 0, v8, vcc
	v_mad_u64_u32 v[7:8], s[0:1], v6, v4, 0
	v_mad_u64_u32 v[9:10], s[0:1], v6, v9, 0
	v_add_co_u32_e32 v4, vcc, v11, v7
	v_addc_co_u32_e32 v4, vcc, v12, v8, vcc
	v_addc_co_u32_e32 v7, vcc, 0, v10, vcc
	v_add_co_u32_e32 v4, vcc, v4, v9
	v_addc_co_u32_e32 v9, vcc, 0, v7, vcc
	v_mul_lo_u32 v10, s25, v4
	v_mul_lo_u32 v11, s24, v9
	v_mad_u64_u32 v[7:8], s[0:1], s24, v4, 0
	v_add3_u32 v8, v8, v11, v10
	v_sub_u32_e32 v10, v6, v8
	v_mov_b32_e32 v11, s25
	v_sub_co_u32_e32 v7, vcc, v5, v7
	v_subb_co_u32_e64 v10, s[0:1], v10, v11, vcc
	v_subrev_co_u32_e64 v11, s[0:1], s24, v7
	v_subbrev_co_u32_e64 v10, s[0:1], 0, v10, s[0:1]
	v_cmp_le_u32_e64 s[0:1], s25, v10
	v_cndmask_b32_e64 v12, 0, -1, s[0:1]
	v_cmp_le_u32_e64 s[0:1], s24, v11
	v_cndmask_b32_e64 v11, 0, -1, s[0:1]
	v_cmp_eq_u32_e64 s[0:1], s25, v10
	v_cndmask_b32_e64 v10, v12, v11, s[0:1]
	v_add_co_u32_e64 v11, s[0:1], 2, v4
	v_addc_co_u32_e64 v12, s[0:1], 0, v9, s[0:1]
	v_add_co_u32_e64 v13, s[0:1], 1, v4
	v_addc_co_u32_e64 v14, s[0:1], 0, v9, s[0:1]
	v_subb_co_u32_e32 v8, vcc, v6, v8, vcc
	v_cmp_ne_u32_e64 s[0:1], 0, v10
	v_cmp_le_u32_e32 vcc, s25, v8
	v_cndmask_b32_e64 v10, v14, v12, s[0:1]
	v_cndmask_b32_e64 v12, 0, -1, vcc
	v_cmp_le_u32_e32 vcc, s24, v7
	v_cndmask_b32_e64 v7, 0, -1, vcc
	v_cmp_eq_u32_e32 vcc, s25, v8
	v_cndmask_b32_e32 v7, v12, v7, vcc
	v_cmp_ne_u32_e32 vcc, 0, v7
	v_cndmask_b32_e64 v7, v13, v11, s[0:1]
	v_cndmask_b32_e32 v113, v9, v10, vcc
	v_cndmask_b32_e32 v112, v4, v7, vcc
.LBB0_4:                                ;   in Loop: Header=BB0_2 Depth=1
	s_andn2_saveexec_b64 s[0:1], s[26:27]
	s_cbranch_execz .LBB0_6
; %bb.5:                                ;   in Loop: Header=BB0_2 Depth=1
	v_cvt_f32_u32_e32 v4, s24
	s_sub_i32 s26, 0, s24
	v_mov_b32_e32 v113, v3
	v_rcp_iflag_f32_e32 v4, v4
	v_mul_f32_e32 v4, 0x4f7ffffe, v4
	v_cvt_u32_f32_e32 v4, v4
	v_mul_lo_u32 v7, s26, v4
	v_mul_hi_u32 v7, v4, v7
	v_add_u32_e32 v4, v4, v7
	v_mul_hi_u32 v4, v5, v4
	v_mul_lo_u32 v7, v4, s24
	v_add_u32_e32 v8, 1, v4
	v_sub_u32_e32 v7, v5, v7
	v_subrev_u32_e32 v9, s24, v7
	v_cmp_le_u32_e32 vcc, s24, v7
	v_cndmask_b32_e32 v7, v7, v9, vcc
	v_cndmask_b32_e32 v4, v4, v8, vcc
	v_add_u32_e32 v8, 1, v4
	v_cmp_le_u32_e32 vcc, s24, v7
	v_cndmask_b32_e32 v112, v4, v8, vcc
.LBB0_6:                                ;   in Loop: Header=BB0_2 Depth=1
	s_or_b64 exec, exec, s[0:1]
	v_mul_lo_u32 v4, v113, s24
	v_mul_lo_u32 v9, v112, s25
	v_mad_u64_u32 v[7:8], s[0:1], v112, s24, 0
	s_load_dwordx2 s[0:1], s[6:7], 0x0
	s_load_dwordx2 s[24:25], s[2:3], 0x0
	v_add3_u32 v4, v8, v9, v4
	v_sub_co_u32_e32 v5, vcc, v5, v7
	v_subb_co_u32_e32 v4, vcc, v6, v4, vcc
	s_waitcnt lgkmcnt(0)
	v_mul_lo_u32 v6, s0, v4
	v_mul_lo_u32 v7, s1, v5
	v_mad_u64_u32 v[1:2], s[0:1], s0, v5, v[1:2]
	v_mul_lo_u32 v4, s24, v4
	v_mul_lo_u32 v8, s25, v5
	v_mad_u64_u32 v[108:109], s[0:1], s24, v5, v[108:109]
	s_add_u32 s22, s22, 1
	s_addc_u32 s23, s23, 0
	s_add_u32 s2, s2, 8
	v_add3_u32 v109, v8, v109, v4
	s_addc_u32 s3, s3, 0
	v_mov_b32_e32 v4, s14
	s_add_u32 s6, s6, 8
	v_mov_b32_e32 v5, s15
	s_addc_u32 s7, s7, 0
	v_cmp_ge_u64_e32 vcc, s[22:23], v[4:5]
	s_add_u32 s20, s20, 8
	v_add3_u32 v2, v7, v2, v6
	s_addc_u32 s21, s21, 0
	s_cbranch_vccnz .LBB0_9
; %bb.7:                                ;   in Loop: Header=BB0_2 Depth=1
	v_mov_b32_e32 v5, v112
	v_mov_b32_e32 v6, v113
	s_branch .LBB0_2
.LBB0_8:
	v_mov_b32_e32 v109, v2
	v_mov_b32_e32 v113, v6
	;; [unrolled: 1-line block ×4, first 2 shown]
.LBB0_9:
	s_load_dwordx2 s[2:3], s[4:5], 0x28
	s_lshl_b64 s[6:7], s[14:15], 3
	s_add_u32 s4, s18, s6
	s_addc_u32 s5, s19, s7
                                        ; implicit-def: $vgpr110
	s_waitcnt lgkmcnt(0)
	v_cmp_gt_u64_e64 s[0:1], s[2:3], v[112:113]
	v_cmp_le_u64_e32 vcc, s[2:3], v[112:113]
	s_and_saveexec_b64 s[2:3], vcc
	s_xor_b64 s[2:3], exec, s[2:3]
; %bb.10:
	s_mov_b32 s14, 0x226b903
	v_mul_hi_u32 v1, v0, s14
	v_mul_u32_u24_e32 v1, 0x77, v1
	v_sub_u32_e32 v110, v0, v1
                                        ; implicit-def: $vgpr0
                                        ; implicit-def: $vgpr1_vgpr2
; %bb.11:
	s_or_saveexec_b64 s[2:3], s[2:3]
	s_load_dwordx2 s[4:5], s[4:5], 0x0
	s_xor_b64 exec, exec, s[2:3]
	s_cbranch_execz .LBB0_15
; %bb.12:
	s_add_u32 s6, s16, s6
	s_addc_u32 s7, s17, s7
	s_load_dwordx2 s[6:7], s[6:7], 0x0
	s_mov_b32 s14, 0x226b903
	v_mul_hi_u32 v5, v0, s14
	v_lshlrev_b64 v[1:2], 4, v[1:2]
	s_waitcnt lgkmcnt(0)
	v_mul_lo_u32 v6, s7, v112
	v_mul_lo_u32 v7, s6, v113
	v_mad_u64_u32 v[3:4], s[6:7], s6, v112, 0
	v_mul_u32_u24_e32 v5, 0x77, v5
	v_sub_u32_e32 v110, v0, v5
	v_add3_u32 v4, v4, v7, v6
	v_lshlrev_b64 v[3:4], 4, v[3:4]
	v_mov_b32_e32 v0, s9
	v_add_co_u32_e32 v3, vcc, s8, v3
	v_addc_co_u32_e32 v0, vcc, v0, v4, vcc
	v_add_co_u32_e32 v1, vcc, v3, v1
	v_addc_co_u32_e32 v0, vcc, v0, v2, vcc
	v_lshlrev_b32_e32 v72, 4, v110
	v_add_co_u32_e32 v42, vcc, v1, v72
	v_addc_co_u32_e32 v43, vcc, 0, v0, vcc
	s_movk_i32 s6, 0x1000
	v_add_co_u32_e32 v26, vcc, s6, v42
	s_movk_i32 s7, 0x2000
	v_addc_co_u32_e32 v27, vcc, 0, v43, vcc
	v_add_co_u32_e32 v44, vcc, s7, v42
	v_addc_co_u32_e32 v45, vcc, 0, v43, vcc
	s_movk_i32 s6, 0x3000
	v_add_co_u32_e32 v46, vcc, s6, v42
	s_movk_i32 s7, 0x4000
	v_addc_co_u32_e32 v47, vcc, 0, v43, vcc
	v_add_co_u32_e32 v66, vcc, s7, v42
	s_movk_i32 s8, 0x5000
	v_addc_co_u32_e32 v67, vcc, 0, v43, vcc
	v_add_co_u32_e32 v68, vcc, s8, v42
	v_addc_co_u32_e32 v69, vcc, 0, v43, vcc
	v_add_co_u32_e32 v70, vcc, 0x6000, v42
	global_load_dwordx4 v[2:5], v[42:43], off
	global_load_dwordx4 v[6:9], v[42:43], off offset:1904
	global_load_dwordx4 v[10:13], v[42:43], off offset:3808
	;; [unrolled: 1-line block ×5, first 2 shown]
	s_nop 0
	global_load_dwordx4 v[26:29], v[44:45], off offset:3232
	global_load_dwordx4 v[30:33], v[46:47], off offset:1040
	global_load_dwordx4 v[34:37], v[46:47], off offset:2944
	global_load_dwordx4 v[38:41], v[66:67], off offset:752
	v_addc_co_u32_e32 v71, vcc, 0, v43, vcc
	global_load_dwordx4 v[42:45], v[66:67], off offset:2656
	global_load_dwordx4 v[46:49], v[68:69], off offset:464
	;; [unrolled: 1-line block ×6, first 2 shown]
	s_movk_i32 s6, 0x76
	v_add_u32_e32 v66, 0, v72
	v_cmp_eq_u32_e32 vcc, s6, v110
	s_waitcnt vmcnt(15)
	ds_write_b128 v66, v[2:5]
	s_waitcnt vmcnt(14)
	ds_write_b128 v66, v[6:9] offset:1904
	s_waitcnt vmcnt(13)
	ds_write_b128 v66, v[10:13] offset:3808
	;; [unrolled: 2-line block ×15, first 2 shown]
	s_and_saveexec_b64 s[6:7], vcc
	s_cbranch_execz .LBB0_14
; %bb.13:
	v_add_co_u32_e32 v1, vcc, 0x7000, v1
	v_addc_co_u32_e32 v2, vcc, 0, v0, vcc
	global_load_dwordx4 v[0:3], v[1:2], off offset:1792
	v_mov_b32_e32 v4, 0
	v_mov_b32_e32 v110, 0x76
	s_waitcnt vmcnt(0)
	ds_write_b128 v4, v[0:3] offset:30464
.LBB0_14:
	s_or_b64 exec, exec, s[6:7]
.LBB0_15:
	s_or_b64 exec, exec, s[2:3]
	v_lshlrev_b32_e32 v0, 4, v110
	v_add_u32_e32 v216, 0, v0
	s_waitcnt lgkmcnt(0)
	s_barrier
	v_sub_u32_e32 v10, 0, v0
	ds_read_b64 v[6:7], v216
	ds_read_b64 v[8:9], v10 offset:30464
	s_add_u32 s6, s12, 0x75f0
	s_addc_u32 s7, s13, 0
	v_cmp_ne_u32_e32 vcc, 0, v110
                                        ; implicit-def: $vgpr4_vgpr5
	s_waitcnt lgkmcnt(0)
	v_add_f64 v[0:1], v[6:7], v[8:9]
	v_add_f64 v[2:3], v[6:7], -v[8:9]
	s_and_saveexec_b64 s[2:3], vcc
	s_xor_b64 s[2:3], exec, s[2:3]
	s_cbranch_execz .LBB0_17
; %bb.16:
	v_mov_b32_e32 v111, 0
	v_lshlrev_b64 v[0:1], 4, v[110:111]
	v_mov_b32_e32 v2, s7
	v_add_co_u32_e32 v0, vcc, s6, v0
	v_addc_co_u32_e32 v1, vcc, v2, v1, vcc
	global_load_dwordx4 v[2:5], v[0:1], off
	ds_read_b64 v[0:1], v10 offset:30472
	ds_read_b64 v[11:12], v216 offset:8
	v_add_f64 v[13:14], v[6:7], v[8:9]
	v_add_f64 v[8:9], v[6:7], -v[8:9]
	s_waitcnt lgkmcnt(0)
	v_add_f64 v[15:16], v[0:1], v[11:12]
	v_add_f64 v[0:1], v[11:12], -v[0:1]
	s_waitcnt vmcnt(0)
	v_fma_f64 v[6:7], -v[8:9], v[4:5], v[13:14]
	v_fma_f64 v[11:12], v[15:16], v[4:5], -v[0:1]
	v_fma_f64 v[13:14], v[8:9], v[4:5], v[13:14]
	v_fma_f64 v[17:18], v[15:16], v[4:5], v[0:1]
	;; [unrolled: 1-line block ×4, first 2 shown]
	v_fma_f64 v[0:1], -v[15:16], v[2:3], v[13:14]
	v_fma_f64 v[2:3], v[8:9], v[2:3], v[17:18]
	ds_write_b128 v10, v[4:7] offset:30464
	v_mov_b32_e32 v4, v110
	v_mov_b32_e32 v5, v111
.LBB0_17:
	s_andn2_saveexec_b64 s[2:3], s[2:3]
	s_cbranch_execz .LBB0_19
; %bb.18:
	v_mov_b32_e32 v8, 0
	ds_read_b128 v[4:7], v8 offset:15232
	s_waitcnt lgkmcnt(0)
	v_add_f64 v[11:12], v[4:5], v[4:5]
	v_mul_f64 v[13:14], v[6:7], -2.0
	v_mov_b32_e32 v4, 0
	v_mov_b32_e32 v5, 0
	ds_write_b128 v8, v[11:14] offset:15232
.LBB0_19:
	s_or_b64 exec, exec, s[2:3]
	v_lshlrev_b64 v[4:5], 4, v[4:5]
	v_mov_b32_e32 v6, s7
	v_add_co_u32_e32 v23, vcc, s6, v4
	v_addc_co_u32_e32 v24, vcc, v6, v5, vcc
	global_load_dwordx4 v[4:7], v[23:24], off offset:1904
	global_load_dwordx4 v[11:14], v[23:24], off offset:3808
	s_movk_i32 s2, 0x1000
	v_add_co_u32_e32 v25, vcc, s2, v23
	ds_write_b128 v216, v[0:3]
	v_addc_co_u32_e32 v26, vcc, 0, v24, vcc
	ds_read_b128 v[0:3], v216 offset:1904
	ds_read_b128 v[15:18], v10 offset:28560
	global_load_dwordx4 v[19:22], v[25:26], off offset:1616
	s_movk_i32 s2, 0x2000
	s_mov_b32 s14, 0x5d8e7cdc
	s_mov_b32 s15, 0xbfd71e95
	s_waitcnt lgkmcnt(0)
	v_add_f64 v[8:9], v[0:1], v[15:16]
	v_add_f64 v[27:28], v[17:18], v[2:3]
	v_add_f64 v[15:16], v[0:1], -v[15:16]
	v_add_f64 v[0:1], v[2:3], -v[17:18]
	s_mov_b32 s16, 0x2a9d6da3
	s_mov_b32 s17, 0xbfe58eea
	;; [unrolled: 1-line block ×28, first 2 shown]
	s_movk_i32 s33, 0x70
	s_waitcnt vmcnt(2)
	v_fma_f64 v[2:3], v[15:16], v[6:7], v[8:9]
	v_fma_f64 v[17:18], v[27:28], v[6:7], v[0:1]
	v_fma_f64 v[8:9], -v[15:16], v[6:7], v[8:9]
	v_fma_f64 v[29:30], v[27:28], v[6:7], -v[0:1]
	v_fma_f64 v[0:1], -v[27:28], v[4:5], v[2:3]
	v_fma_f64 v[2:3], v[15:16], v[4:5], v[17:18]
	v_fma_f64 v[6:7], v[27:28], v[4:5], v[8:9]
	;; [unrolled: 1-line block ×3, first 2 shown]
	ds_write_b128 v216, v[0:3] offset:1904
	ds_write_b128 v10, v[6:9] offset:28560
	ds_read_b128 v[0:3], v216 offset:3808
	ds_read_b128 v[4:7], v10 offset:26656
	global_load_dwordx4 v[15:18], v[25:26], off offset:3520
	s_waitcnt lgkmcnt(0)
	v_add_f64 v[8:9], v[0:1], v[4:5]
	v_add_f64 v[25:26], v[6:7], v[2:3]
	v_add_f64 v[27:28], v[0:1], -v[4:5]
	v_add_f64 v[0:1], v[2:3], -v[6:7]
	s_waitcnt vmcnt(2)
	v_fma_f64 v[2:3], v[27:28], v[13:14], v[8:9]
	v_fma_f64 v[4:5], v[25:26], v[13:14], v[0:1]
	v_fma_f64 v[6:7], -v[27:28], v[13:14], v[8:9]
	v_fma_f64 v[8:9], v[25:26], v[13:14], -v[0:1]
	v_fma_f64 v[0:1], -v[25:26], v[11:12], v[2:3]
	v_fma_f64 v[2:3], v[27:28], v[11:12], v[4:5]
	v_fma_f64 v[4:5], v[25:26], v[11:12], v[6:7]
	v_fma_f64 v[6:7], v[27:28], v[11:12], v[8:9]
	v_add_co_u32_e32 v8, vcc, s2, v23
	ds_write_b128 v216, v[0:3] offset:3808
	ds_write_b128 v10, v[4:7] offset:26656
	v_addc_co_u32_e32 v9, vcc, 0, v24, vcc
	ds_read_b128 v[0:3], v216 offset:5712
	ds_read_b128 v[4:7], v10 offset:24752
	global_load_dwordx4 v[11:14], v[8:9], off offset:1328
	s_movk_i32 s2, 0x3000
	s_waitcnt lgkmcnt(0)
	v_add_f64 v[25:26], v[0:1], v[4:5]
	v_add_f64 v[27:28], v[6:7], v[2:3]
	v_add_f64 v[29:30], v[0:1], -v[4:5]
	v_add_f64 v[0:1], v[2:3], -v[6:7]
	s_waitcnt vmcnt(2)
	v_fma_f64 v[2:3], v[29:30], v[21:22], v[25:26]
	v_fma_f64 v[4:5], v[27:28], v[21:22], v[0:1]
	v_fma_f64 v[6:7], -v[29:30], v[21:22], v[25:26]
	v_fma_f64 v[21:22], v[27:28], v[21:22], -v[0:1]
	v_fma_f64 v[0:1], -v[27:28], v[19:20], v[2:3]
	v_fma_f64 v[2:3], v[29:30], v[19:20], v[4:5]
	v_fma_f64 v[4:5], v[27:28], v[19:20], v[6:7]
	v_fma_f64 v[6:7], v[29:30], v[19:20], v[21:22]
	ds_write_b128 v216, v[0:3] offset:5712
	ds_write_b128 v10, v[4:7] offset:24752
	ds_read_b128 v[0:3], v216 offset:7616
	ds_read_b128 v[4:7], v10 offset:22848
	global_load_dwordx4 v[19:22], v[8:9], off offset:3232
	s_waitcnt lgkmcnt(0)
	v_add_f64 v[8:9], v[0:1], v[4:5]
	v_add_f64 v[25:26], v[6:7], v[2:3]
	v_add_f64 v[27:28], v[0:1], -v[4:5]
	v_add_f64 v[0:1], v[2:3], -v[6:7]
	s_waitcnt vmcnt(2)
	v_fma_f64 v[2:3], v[27:28], v[17:18], v[8:9]
	v_fma_f64 v[4:5], v[25:26], v[17:18], v[0:1]
	v_fma_f64 v[6:7], -v[27:28], v[17:18], v[8:9]
	v_fma_f64 v[8:9], v[25:26], v[17:18], -v[0:1]
	v_fma_f64 v[0:1], -v[25:26], v[15:16], v[2:3]
	v_fma_f64 v[2:3], v[27:28], v[15:16], v[4:5]
	v_fma_f64 v[4:5], v[25:26], v[15:16], v[6:7]
	;; [unrolled: 1-line block ×3, first 2 shown]
	v_add_co_u32_e32 v8, vcc, s2, v23
	ds_write_b128 v216, v[0:3] offset:7616
	ds_write_b128 v10, v[4:7] offset:22848
	v_addc_co_u32_e32 v9, vcc, 0, v24, vcc
	ds_read_b128 v[0:3], v216 offset:9520
	ds_read_b128 v[4:7], v10 offset:20944
	global_load_dwordx4 v[15:18], v[8:9], off offset:1040
	s_mov_b32 s2, 0x370991
	s_mov_b32 s3, 0x3fedd6d0
	v_cmp_gt_u32_e32 vcc, s33, v110
	s_waitcnt lgkmcnt(0)
	v_add_f64 v[8:9], v[0:1], v[4:5]
	v_add_f64 v[23:24], v[6:7], v[2:3]
	v_add_f64 v[25:26], v[0:1], -v[4:5]
	v_add_f64 v[0:1], v[2:3], -v[6:7]
	s_waitcnt vmcnt(2)
	v_fma_f64 v[2:3], v[25:26], v[13:14], v[8:9]
	v_fma_f64 v[4:5], v[23:24], v[13:14], v[0:1]
	v_fma_f64 v[6:7], -v[25:26], v[13:14], v[8:9]
	v_fma_f64 v[8:9], v[23:24], v[13:14], -v[0:1]
	v_fma_f64 v[0:1], -v[23:24], v[11:12], v[2:3]
	v_fma_f64 v[2:3], v[25:26], v[11:12], v[4:5]
	v_fma_f64 v[4:5], v[23:24], v[11:12], v[6:7]
	;; [unrolled: 1-line block ×3, first 2 shown]
	ds_write_b128 v216, v[0:3] offset:9520
	ds_write_b128 v10, v[4:7] offset:20944
	ds_read_b128 v[0:3], v216 offset:11424
	ds_read_b128 v[4:7], v10 offset:19040
	s_waitcnt lgkmcnt(0)
	v_add_f64 v[8:9], v[0:1], v[4:5]
	v_add_f64 v[11:12], v[6:7], v[2:3]
	v_add_f64 v[13:14], v[0:1], -v[4:5]
	v_add_f64 v[0:1], v[2:3], -v[6:7]
	s_waitcnt vmcnt(1)
	v_fma_f64 v[2:3], v[13:14], v[21:22], v[8:9]
	v_fma_f64 v[4:5], v[11:12], v[21:22], v[0:1]
	v_fma_f64 v[6:7], -v[13:14], v[21:22], v[8:9]
	v_fma_f64 v[8:9], v[11:12], v[21:22], -v[0:1]
	v_fma_f64 v[0:1], -v[11:12], v[19:20], v[2:3]
	v_fma_f64 v[2:3], v[13:14], v[19:20], v[4:5]
	v_fma_f64 v[4:5], v[11:12], v[19:20], v[6:7]
	;; [unrolled: 1-line block ×3, first 2 shown]
	ds_write_b128 v216, v[0:3] offset:11424
	ds_write_b128 v10, v[4:7] offset:19040
	ds_read_b128 v[0:3], v216 offset:13328
	ds_read_b128 v[4:7], v10 offset:17136
	s_waitcnt lgkmcnt(0)
	v_add_f64 v[8:9], v[0:1], v[4:5]
	v_add_f64 v[11:12], v[6:7], v[2:3]
	v_add_f64 v[13:14], v[0:1], -v[4:5]
	v_add_f64 v[0:1], v[2:3], -v[6:7]
	s_waitcnt vmcnt(0)
	v_fma_f64 v[2:3], v[13:14], v[17:18], v[8:9]
	v_fma_f64 v[4:5], v[11:12], v[17:18], v[0:1]
	v_fma_f64 v[6:7], -v[13:14], v[17:18], v[8:9]
	v_fma_f64 v[8:9], v[11:12], v[17:18], -v[0:1]
	v_fma_f64 v[0:1], -v[11:12], v[15:16], v[2:3]
	v_fma_f64 v[2:3], v[13:14], v[15:16], v[4:5]
	v_fma_f64 v[4:5], v[11:12], v[15:16], v[6:7]
	;; [unrolled: 1-line block ×3, first 2 shown]
	ds_write_b128 v216, v[0:3] offset:13328
	ds_write_b128 v10, v[4:7] offset:17136
	s_waitcnt lgkmcnt(0)
	s_barrier
	s_barrier
	ds_read_b128 v[4:7], v216 offset:28672
	ds_read_b128 v[68:71], v216 offset:1792
	ds_read_b128 v[28:31], v216
	ds_read_b128 v[64:67], v216 offset:3584
	ds_read_b128 v[60:63], v216 offset:5376
	;; [unrolled: 1-line block ×14, first 2 shown]
	s_waitcnt lgkmcnt(14)
	v_add_f64 v[188:189], v[70:71], -v[6:7]
	v_add_f64 v[186:187], v[68:69], -v[4:5]
	v_add_f64 v[122:123], v[68:69], v[4:5]
	s_waitcnt lgkmcnt(11)
	v_add_f64 v[178:179], v[66:67], -v[10:11]
	v_add_f64 v[206:207], v[70:71], v[6:7]
	v_add_f64 v[184:185], v[64:65], -v[8:9]
	v_add_f64 v[126:127], v[64:65], v[8:9]
	v_add_f64 v[204:205], v[66:67], v[10:11]
	v_mul_f64 v[136:137], v[188:189], s[14:15]
	v_mul_f64 v[150:151], v[186:187], s[14:15]
	s_waitcnt lgkmcnt(10)
	v_add_f64 v[174:175], v[62:63], -v[14:15]
	v_add_f64 v[180:181], v[60:61], -v[12:13]
	v_mul_f64 v[138:139], v[178:179], s[16:17]
	v_mul_f64 v[148:149], v[184:185], s[16:17]
	v_add_f64 v[120:121], v[60:61], v[12:13]
	v_add_f64 v[202:203], v[62:63], v[14:15]
	v_fma_f64 v[0:1], v[122:123], s[2:3], v[136:137]
	v_fma_f64 v[2:3], v[206:207], s[2:3], -v[150:151]
	s_waitcnt lgkmcnt(7)
	v_add_f64 v[168:169], v[58:59], -v[18:19]
	v_add_f64 v[170:171], v[56:57], -v[16:17]
	v_mul_f64 v[210:211], v[174:175], s[20:21]
	v_mul_f64 v[140:141], v[180:181], s[20:21]
	v_fma_f64 v[72:73], v[126:127], s[8:9], v[138:139]
	v_fma_f64 v[74:75], v[204:205], s[8:9], -v[148:149]
	v_add_f64 v[0:1], v[28:29], v[0:1]
	v_add_f64 v[2:3], v[30:31], v[2:3]
	v_add_f64 v[118:119], v[56:57], v[16:17]
	v_add_f64 v[198:199], v[58:59], v[18:19]
	s_waitcnt lgkmcnt(6)
	v_add_f64 v[164:165], v[54:55], -v[22:23]
	v_add_f64 v[162:163], v[52:53], -v[20:21]
	v_mul_f64 v[130:131], v[168:169], s[22:23]
	v_mul_f64 v[142:143], v[170:171], s[22:23]
	v_fma_f64 v[76:77], v[120:121], s[6:7], v[210:211]
	v_fma_f64 v[78:79], v[202:203], s[6:7], -v[140:141]
	v_add_f64 v[0:1], v[72:73], v[0:1]
	v_add_f64 v[2:3], v[74:75], v[2:3]
	v_add_f64 v[116:117], v[52:53], v[20:21]
	v_add_f64 v[192:193], v[54:55], v[22:23]
	;; [unrolled: 11-line block ×5, first 2 shown]
	v_mul_f64 v[156:157], v[190:191], s[40:41]
	v_mul_f64 v[160:161], v[194:195], s[40:41]
	v_fma_f64 v[76:77], v[124:125], s[30:31], v[154:155]
	v_fma_f64 v[78:79], v[200:201], s[30:31], -v[158:159]
	v_add_f64 v[0:1], v[72:73], v[0:1]
	v_add_f64 v[2:3], v[74:75], v[2:3]
	s_barrier
	v_fma_f64 v[72:73], v[152:153], s[42:43], v[156:157]
	v_fma_f64 v[74:75], v[208:209], s[42:43], -v[160:161]
	v_add_f64 v[0:1], v[76:77], v[0:1]
	v_add_f64 v[2:3], v[78:79], v[2:3]
	;; [unrolled: 1-line block ×4, first 2 shown]
	s_and_saveexec_b64 s[34:35], vcc
	s_cbranch_execz .LBB0_21
; %bb.20:
	v_mul_f64 v[72:73], v[206:207], s[42:43]
	s_mov_b32 s53, 0x3fc7851a
	s_mov_b32 s52, s40
	v_mul_f64 v[78:79], v[204:205], s[2:3]
	v_mul_f64 v[86:87], v[202:203], s[30:31]
	;; [unrolled: 1-line block ×3, first 2 shown]
	s_mov_b32 s47, 0x3fe0d888
	s_mov_b32 s46, s38
	v_fma_f64 v[80:81], v[186:187], s[52:53], v[72:73]
	s_mov_b32 s49, 0x3fd71e95
	s_mov_b32 s48, s14
	v_fma_f64 v[88:89], v[184:185], s[14:15], v[78:79]
	v_mul_f64 v[90:91], v[198:199], s[8:9]
	v_fma_f64 v[94:95], v[180:181], s[46:47], v[86:87]
	v_fma_f64 v[96:97], v[122:123], s[42:43], v[92:93]
	v_mul_f64 v[84:85], v[192:193], s[28:29]
	v_add_f64 v[80:81], v[30:31], v[80:81]
	v_fma_f64 v[72:73], v[186:187], s[40:41], v[72:73]
	s_mov_b32 s55, 0x3fe9895b
	s_mov_b32 s54, s36
	v_fma_f64 v[100:101], v[170:171], s[16:17], v[90:91]
	s_mov_b32 s57, 0x3fe58eea
	v_add_f64 v[96:97], v[28:29], v[96:97]
	s_mov_b32 s56, s16
	v_add_f64 v[80:81], v[88:89], v[80:81]
	v_mul_f64 v[88:89], v[178:179], s[48:49]
	v_mul_f64 v[82:83], v[196:197], s[6:7]
	v_fma_f64 v[106:107], v[162:163], s[54:55], v[84:85]
	v_fma_f64 v[92:93], v[122:123], s[42:43], -v[92:93]
	v_fma_f64 v[78:79], v[184:185], s[48:49], v[78:79]
	v_add_f64 v[72:73], v[30:31], v[72:73]
	v_mul_f64 v[98:99], v[164:165], s[36:37]
	v_add_f64 v[80:81], v[94:95], v[80:81]
	v_mul_f64 v[94:95], v[174:175], s[38:39]
	v_fma_f64 v[102:103], v[126:127], s[2:3], v[88:89]
	v_fma_f64 v[88:89], v[126:127], s[2:3], -v[88:89]
	v_add_f64 v[92:93], v[28:29], v[92:93]
	v_fma_f64 v[86:87], v[180:181], s[38:39], v[86:87]
	v_add_f64 v[72:73], v[78:79], v[72:73]
	v_mul_f64 v[74:75], v[122:123], s[2:3]
	v_add_f64 v[80:81], v[100:101], v[80:81]
	v_mul_f64 v[100:101], v[168:169], s[56:57]
	v_fma_f64 v[212:213], v[120:121], s[30:31], v[94:95]
	v_add_f64 v[96:97], v[102:103], v[96:97]
	v_fma_f64 v[102:103], v[172:173], s[20:21], v[82:83]
	s_mov_b32 s51, 0x3feca52d
	s_mov_b32 s50, s20
	v_mul_f64 v[104:105], v[166:167], s[50:51]
	v_add_f64 v[80:81], v[106:107], v[80:81]
	v_fma_f64 v[106:107], v[118:119], s[8:9], v[100:101]
	v_fma_f64 v[94:95], v[120:121], s[30:31], -v[94:95]
	v_add_f64 v[96:97], v[212:213], v[96:97]
	v_add_f64 v[88:89], v[88:89], v[92:93]
	v_fma_f64 v[90:91], v[170:171], s[56:57], v[90:91]
	v_add_f64 v[72:73], v[86:87], v[72:73]
	buffer_store_dword v74, off, s[60:63], 0 ; 4-byte Folded Spill
	s_nop 0
	buffer_store_dword v75, off, s[60:63], 0 offset:4 ; 4-byte Folded Spill
	v_add_f64 v[80:81], v[102:103], v[80:81]
	v_fma_f64 v[102:103], v[116:117], s[28:29], v[98:99]
	v_mul_f64 v[74:75], v[200:201], s[26:27]
	v_add_f64 v[92:93], v[106:107], v[96:97]
	v_mul_f64 v[86:87], v[176:177], s[24:25]
	v_fma_f64 v[96:97], v[114:115], s[6:7], v[104:105]
	v_fma_f64 v[100:101], v[118:119], s[8:9], -v[100:101]
	v_add_f64 v[88:89], v[94:95], v[88:89]
	v_fma_f64 v[84:85], v[162:163], s[36:37], v[84:85]
	v_add_f64 v[72:73], v[90:91], v[72:73]
	s_mov_b32 s45, 0x3feec746
	v_add_f64 v[92:93], v[102:103], v[92:93]
	s_mov_b32 s44, s24
	s_mov_b32 s59, 0x3fefdd0d
	;; [unrolled: 1-line block ×3, first 2 shown]
	v_mul_f64 v[76:77], v[208:209], s[18:19]
	v_fma_f64 v[78:79], v[182:183], s[44:45], v[74:75]
	v_mul_f64 v[90:91], v[190:191], s[58:59]
	v_fma_f64 v[94:95], v[124:125], s[26:27], v[86:87]
	v_fma_f64 v[98:99], v[116:117], s[28:29], -v[98:99]
	v_add_f64 v[88:89], v[100:101], v[88:89]
	v_add_f64 v[92:93], v[96:97], v[92:93]
	v_fma_f64 v[82:83], v[172:173], s[50:51], v[82:83]
	v_add_f64 v[72:73], v[84:85], v[72:73]
	v_fma_f64 v[84:85], v[194:195], s[22:23], v[76:77]
	;; [unrolled: 2-line block ×3, first 2 shown]
	v_fma_f64 v[96:97], v[114:115], s[6:7], -v[104:105]
	v_add_f64 v[88:89], v[98:99], v[88:89]
	v_add_f64 v[92:93], v[94:95], v[92:93]
	v_fma_f64 v[94:95], v[182:183], s[24:25], v[74:75]
	v_add_f64 v[82:83], v[82:83], v[72:73]
	v_mul_f64 v[104:105], v[178:179], s[50:51]
	v_add_f64 v[74:75], v[84:85], v[78:79]
	v_fma_f64 v[78:79], v[124:125], s[26:27], -v[86:87]
	v_mul_f64 v[217:218], v[202:203], s[18:19]
	v_add_f64 v[84:85], v[96:97], v[88:89]
	v_add_f64 v[72:73], v[80:81], v[92:93]
	v_mul_f64 v[221:222], v[198:199], s[28:29]
	v_add_f64 v[80:81], v[94:95], v[82:83]
	v_mul_f64 v[82:83], v[206:207], s[30:31]
	v_mul_f64 v[94:95], v[204:205], s[6:7]
	;; [unrolled: 1-line block ×3, first 2 shown]
	v_fma_f64 v[227:228], v[126:127], s[6:7], v[104:105]
	v_add_f64 v[78:79], v[78:79], v[84:85]
	v_mul_f64 v[84:85], v[188:189], s[38:39]
	v_fma_f64 v[229:230], v[180:181], s[58:59], v[217:218]
	v_mul_f64 v[100:101], v[192:193], s[2:3]
	v_fma_f64 v[96:97], v[186:187], s[46:47], v[82:83]
	v_fma_f64 v[219:220], v[184:185], s[20:21], v[94:95]
	v_fma_f64 v[82:83], v[186:187], s[38:39], v[82:83]
	v_mul_f64 v[231:232], v[168:169], s[54:55]
	v_fma_f64 v[233:234], v[120:121], s[18:19], v[225:226]
	v_fma_f64 v[106:107], v[122:123], s[30:31], v[84:85]
	v_fma_f64 v[84:85], v[122:123], s[30:31], -v[84:85]
	v_fma_f64 v[94:95], v[184:185], s[50:51], v[94:95]
	v_add_f64 v[96:97], v[30:31], v[96:97]
	v_fma_f64 v[88:89], v[152:153], s[18:19], -v[90:91]
	v_add_f64 v[82:83], v[30:31], v[82:83]
	v_mul_f64 v[90:91], v[196:197], s[42:43]
	v_fma_f64 v[223:224], v[162:163], s[48:49], v[100:101]
	v_add_f64 v[106:107], v[28:29], v[106:107]
	v_fma_f64 v[104:105], v[126:127], s[6:7], -v[104:105]
	v_add_f64 v[84:85], v[28:29], v[84:85]
	v_add_f64 v[96:97], v[219:220], v[96:97]
	v_fma_f64 v[219:220], v[170:171], s[36:37], v[221:222]
	v_fma_f64 v[217:218], v[180:181], s[22:23], v[217:218]
	v_add_f64 v[82:83], v[94:95], v[82:83]
	v_mul_f64 v[86:87], v[200:201], s[8:9]
	v_add_f64 v[106:107], v[227:228], v[106:107]
	v_mul_f64 v[227:228], v[164:165], s[14:15]
	v_fma_f64 v[102:103], v[172:173], s[52:53], v[90:91]
	v_add_f64 v[96:97], v[229:230], v[96:97]
	v_fma_f64 v[229:230], v[118:119], s[28:29], v[231:232]
	v_add_f64 v[84:85], v[104:105], v[84:85]
	v_mul_f64 v[104:105], v[166:167], s[40:41]
	v_fma_f64 v[221:222], v[170:171], s[54:55], v[221:222]
	v_add_f64 v[106:107], v[233:234], v[106:107]
	v_add_f64 v[82:83], v[217:218], v[82:83]
	v_mul_f64 v[92:93], v[208:209], s[26:27]
	v_add_f64 v[94:95], v[219:220], v[96:97]
	v_fma_f64 v[96:97], v[120:121], s[18:19], -v[225:226]
	v_fma_f64 v[219:220], v[116:117], s[2:3], v[227:228]
	v_fma_f64 v[98:99], v[182:183], s[16:17], v[86:87]
	v_fma_f64 v[217:218], v[118:119], s[28:29], -v[231:232]
	v_add_f64 v[106:107], v[229:230], v[106:107]
	v_fma_f64 v[100:101], v[162:163], s[14:15], v[100:101]
	v_add_f64 v[82:83], v[221:222], v[82:83]
	v_add_f64 v[94:95], v[223:224], v[94:95]
	;; [unrolled: 1-line block ×3, first 2 shown]
	v_mul_f64 v[96:97], v[176:177], s[56:57]
	v_fma_f64 v[223:224], v[114:115], s[42:43], v[104:105]
	v_fma_f64 v[76:77], v[194:195], s[58:59], v[76:77]
	v_add_f64 v[106:107], v[219:220], v[106:107]
	v_fma_f64 v[90:91], v[172:173], s[40:41], v[90:91]
	v_add_f64 v[82:83], v[100:101], v[82:83]
	v_add_f64 v[94:95], v[102:103], v[94:95]
	v_fma_f64 v[102:103], v[116:117], s[2:3], -v[227:228]
	v_add_f64 v[84:85], v[217:218], v[84:85]
	v_fma_f64 v[219:220], v[124:125], s[8:9], v[96:97]
	v_fma_f64 v[100:101], v[194:195], s[44:45], v[92:93]
	v_add_f64 v[106:107], v[223:224], v[106:107]
	v_mul_f64 v[217:218], v[190:191], s[24:25]
	v_add_f64 v[90:91], v[90:91], v[82:83]
	v_add_f64 v[94:95], v[98:99], v[94:95]
	;; [unrolled: 1-line block ×5, first 2 shown]
	v_mul_f64 v[221:222], v[204:205], s[26:27]
	v_add_f64 v[102:103], v[219:220], v[106:107]
	v_mul_f64 v[106:107], v[188:189], s[36:37]
	v_mul_f64 v[229:230], v[178:179], s[44:45]
	v_add_f64 v[78:79], v[100:101], v[94:95]
	v_mul_f64 v[100:101], v[206:207], s[28:29]
	v_fma_f64 v[98:99], v[152:153], s[26:27], v[217:218]
	v_fma_f64 v[88:89], v[194:195], s[24:25], v[92:93]
	v_fma_f64 v[92:93], v[152:153], s[26:27], -v[217:218]
	v_mul_f64 v[217:218], v[202:203], s[2:3]
	v_fma_f64 v[231:232], v[122:123], s[28:29], v[106:107]
	v_fma_f64 v[235:236], v[184:185], s[24:25], v[221:222]
	v_fma_f64 v[106:107], v[122:123], s[28:29], -v[106:107]
	v_fma_f64 v[225:226], v[186:187], s[54:55], v[100:101]
	v_fma_f64 v[100:101], v[186:187], s[36:37], v[100:101]
	v_mul_f64 v[237:238], v[174:175], s[14:15]
	v_fma_f64 v[239:240], v[126:127], s[26:27], v[229:230]
	v_add_f64 v[76:77], v[98:99], v[102:103]
	v_add_f64 v[231:232], v[28:29], v[231:232]
	v_mul_f64 v[102:103], v[198:199], s[30:31]
	v_fma_f64 v[233:234], v[180:181], s[48:49], v[217:218]
	v_add_f64 v[225:226], v[30:31], v[225:226]
	v_fma_f64 v[221:222], v[184:185], s[44:45], v[221:222]
	v_add_f64 v[100:101], v[30:31], v[100:101]
	v_fma_f64 v[229:230], v[126:127], s[26:27], -v[229:230]
	v_add_f64 v[106:107], v[28:29], v[106:107]
	v_fma_f64 v[241:242], v[120:121], s[2:3], v[237:238]
	v_add_f64 v[231:232], v[239:240], v[231:232]
	v_mul_f64 v[98:99], v[192:193], s[18:19]
	v_add_f64 v[225:226], v[235:236], v[225:226]
	v_mul_f64 v[235:236], v[168:169], s[38:39]
	v_fma_f64 v[227:228], v[170:171], s[46:47], v[102:103]
	v_fma_f64 v[217:218], v[180:181], s[14:15], v[217:218]
	v_add_f64 v[100:101], v[221:222], v[100:101]
	v_fma_f64 v[221:222], v[120:121], s[2:3], -v[237:238]
	v_add_f64 v[106:107], v[229:230], v[106:107]
	v_mul_f64 v[229:230], v[164:165], s[58:59]
	v_add_f64 v[225:226], v[233:234], v[225:226]
	v_fma_f64 v[233:234], v[118:119], s[30:31], v[235:236]
	v_add_f64 v[231:232], v[241:242], v[231:232]
	v_fma_f64 v[86:87], v[182:183], s[56:57], v[86:87]
	v_mul_f64 v[94:95], v[196:197], s[8:9]
	v_fma_f64 v[223:224], v[162:163], s[22:23], v[98:99]
	v_fma_f64 v[102:103], v[170:171], s[38:39], v[102:103]
	v_add_f64 v[100:101], v[217:218], v[100:101]
	v_fma_f64 v[217:218], v[118:119], s[30:31], -v[235:236]
	v_add_f64 v[106:107], v[221:222], v[106:107]
	v_add_f64 v[221:222], v[227:228], v[225:226]
	v_mul_f64 v[225:226], v[166:167], s[16:17]
	v_fma_f64 v[227:228], v[116:117], s[18:19], v[229:230]
	v_add_f64 v[231:232], v[233:234], v[231:232]
	v_fma_f64 v[104:105], v[114:115], s[42:43], -v[104:105]
	v_add_f64 v[86:87], v[86:87], v[90:91]
	v_mul_f64 v[90:91], v[200:201], s[42:43]
	v_fma_f64 v[219:220], v[172:173], s[56:57], v[94:95]
	v_fma_f64 v[98:99], v[162:163], s[58:59], v[98:99]
	v_add_f64 v[100:101], v[102:103], v[100:101]
	v_fma_f64 v[102:103], v[116:117], s[18:19], -v[229:230]
	v_add_f64 v[106:107], v[217:218], v[106:107]
	v_add_f64 v[217:218], v[223:224], v[221:222]
	v_mul_f64 v[221:222], v[176:177], s[40:41]
	v_fma_f64 v[223:224], v[114:115], s[8:9], v[225:226]
	v_add_f64 v[227:228], v[227:228], v[231:232]
	v_fma_f64 v[96:97], v[124:125], s[8:9], -v[96:97]
	v_add_f64 v[84:85], v[104:105], v[84:85]
	v_fma_f64 v[104:105], v[182:183], s[52:53], v[90:91]
	v_fma_f64 v[94:95], v[172:173], s[16:17], v[94:95]
	v_add_f64 v[98:99], v[98:99], v[100:101]
	v_fma_f64 v[100:101], v[114:115], s[8:9], -v[225:226]
	v_add_f64 v[102:103], v[102:103], v[106:107]
	v_add_f64 v[106:107], v[219:220], v[217:218]
	v_mul_f64 v[217:218], v[190:191], s[50:51]
	v_fma_f64 v[219:220], v[124:125], s[42:43], v[221:222]
	v_add_f64 v[223:224], v[223:224], v[227:228]
	v_add_f64 v[84:85], v[96:97], v[84:85]
	v_fma_f64 v[90:91], v[182:183], s[40:41], v[90:91]
	v_add_f64 v[94:95], v[94:95], v[98:99]
	v_fma_f64 v[98:99], v[124:125], s[42:43], -v[221:222]
	v_add_f64 v[100:101], v[100:101], v[102:103]
	v_add_f64 v[104:105], v[104:105], v[106:107]
	v_fma_f64 v[106:107], v[152:153], s[6:7], v[217:218]
	v_add_f64 v[219:220], v[219:220], v[223:224]
	v_fma_f64 v[217:218], v[152:153], s[6:7], -v[217:218]
	v_mul_f64 v[229:230], v[178:179], s[46:47]
	v_add_f64 v[94:95], v[90:91], v[94:95]
	v_add_f64 v[90:91], v[88:89], v[86:87]
	;; [unrolled: 1-line block ×4, first 2 shown]
	v_mul_f64 v[100:101], v[206:207], s[26:27]
	v_add_f64 v[84:85], v[106:107], v[219:220]
	v_mul_f64 v[106:107], v[188:189], s[24:25]
	v_mul_f64 v[223:224], v[202:203], s[8:9]
	;; [unrolled: 1-line block ×3, first 2 shown]
	v_fma_f64 v[241:242], v[126:127], s[30:31], v[229:230]
	v_add_f64 v[92:93], v[217:218], v[98:99]
	v_mul_f64 v[98:99], v[204:205], s[30:31]
	v_fma_f64 v[217:218], v[186:187], s[44:45], v[100:101]
	v_fma_f64 v[100:101], v[186:187], s[24:25], v[100:101]
	;; [unrolled: 1-line block ×3, first 2 shown]
	v_mul_f64 v[96:97], v[208:209], s[6:7]
	v_mul_f64 v[233:234], v[198:199], s[6:7]
	v_fma_f64 v[237:238], v[180:181], s[16:17], v[223:224]
	v_fma_f64 v[106:107], v[122:123], s[26:27], -v[106:107]
	v_fma_f64 v[227:228], v[184:185], s[38:39], v[98:99]
	v_add_f64 v[217:218], v[30:31], v[217:218]
	v_fma_f64 v[98:99], v[184:185], s[46:47], v[98:99]
	v_add_f64 v[231:232], v[28:29], v[231:232]
	v_add_f64 v[100:101], v[30:31], v[100:101]
	v_mul_f64 v[243:244], v[168:169], s[20:21]
	v_fma_f64 v[245:246], v[120:121], s[8:9], v[239:240]
	v_fma_f64 v[102:103], v[194:195], s[20:21], v[96:97]
	;; [unrolled: 1-line block ×3, first 2 shown]
	v_add_f64 v[217:218], v[227:228], v[217:218]
	v_mul_f64 v[221:222], v[192:193], s[42:43]
	v_add_f64 v[231:232], v[241:242], v[231:232]
	v_fma_f64 v[227:228], v[170:171], s[50:51], v[233:234]
	v_fma_f64 v[229:230], v[126:127], s[30:31], -v[229:230]
	v_add_f64 v[106:107], v[28:29], v[106:107]
	v_fma_f64 v[223:224], v[180:181], s[56:57], v[223:224]
	v_add_f64 v[98:99], v[98:99], v[100:101]
	v_add_f64 v[217:218], v[237:238], v[217:218]
	v_mul_f64 v[100:101], v[164:165], s[40:41]
	v_fma_f64 v[237:238], v[118:119], s[6:7], v[243:244]
	v_add_f64 v[231:232], v[245:246], v[231:232]
	v_add_f64 v[94:95], v[96:97], v[94:95]
	v_mul_f64 v[96:97], v[196:197], s[18:19]
	v_fma_f64 v[235:236], v[162:163], s[52:53], v[221:222]
	v_add_f64 v[106:107], v[229:230], v[106:107]
	v_add_f64 v[217:218], v[227:228], v[217:218]
	v_fma_f64 v[227:228], v[120:121], s[8:9], -v[239:240]
	v_fma_f64 v[229:230], v[170:171], s[20:21], v[233:234]
	v_add_f64 v[98:99], v[223:224], v[98:99]
	v_mul_f64 v[223:224], v[166:167], s[58:59]
	v_fma_f64 v[233:234], v[116:117], s[42:43], v[100:101]
	v_add_f64 v[231:232], v[237:238], v[231:232]
	v_add_f64 v[86:87], v[102:103], v[104:105]
	v_mul_f64 v[102:103], v[200:201], s[2:3]
	v_fma_f64 v[225:226], v[172:173], s[22:23], v[96:97]
	v_add_f64 v[217:218], v[235:236], v[217:218]
	v_fma_f64 v[235:236], v[118:119], s[6:7], -v[243:244]
	v_add_f64 v[106:107], v[227:228], v[106:107]
	v_fma_f64 v[221:222], v[162:163], s[40:41], v[221:222]
	v_add_f64 v[98:99], v[229:230], v[98:99]
	v_mul_f64 v[227:228], v[176:177], s[14:15]
	v_fma_f64 v[229:230], v[114:115], s[18:19], v[223:224]
	v_add_f64 v[231:232], v[233:234], v[231:232]
	v_fma_f64 v[219:220], v[182:183], s[48:49], v[102:103]
	v_add_f64 v[217:218], v[225:226], v[217:218]
	v_fma_f64 v[100:101], v[116:117], s[42:43], -v[100:101]
	v_add_f64 v[106:107], v[235:236], v[106:107]
	v_fma_f64 v[96:97], v[172:173], s[58:59], v[96:97]
	v_add_f64 v[98:99], v[221:222], v[98:99]
	v_fma_f64 v[225:226], v[124:125], s[2:3], v[227:228]
	v_add_f64 v[229:230], v[229:230], v[231:232]
	v_mul_f64 v[104:105], v[208:209], s[28:29]
	v_mul_f64 v[221:222], v[190:191], s[36:37]
	v_fma_f64 v[223:224], v[114:115], s[18:19], -v[223:224]
	v_add_f64 v[100:101], v[100:101], v[106:107]
	v_fma_f64 v[102:103], v[182:183], s[14:15], v[102:103]
	v_add_f64 v[96:97], v[96:97], v[98:99]
	v_add_f64 v[98:99], v[219:220], v[217:218]
	;; [unrolled: 1-line block ×3, first 2 shown]
	v_mul_f64 v[225:226], v[206:207], s[18:19]
	v_fma_f64 v[231:232], v[194:195], s[54:55], v[104:105]
	v_fma_f64 v[106:107], v[152:153], s[28:29], v[221:222]
	v_fma_f64 v[219:220], v[124:125], s[2:3], -v[227:228]
	v_add_f64 v[100:101], v[223:224], v[100:101]
	v_fma_f64 v[104:105], v[194:195], s[36:37], v[104:105]
	v_add_f64 v[102:103], v[102:103], v[96:97]
	v_mul_f64 v[223:224], v[188:189], s[22:23]
	v_mul_f64 v[227:228], v[204:205], s[42:43]
	v_fma_f64 v[229:230], v[186:187], s[58:59], v[225:226]
	v_add_f64 v[96:97], v[106:107], v[217:218]
	v_mul_f64 v[106:107], v[178:179], s[40:41]
	v_add_f64 v[100:101], v[219:220], v[100:101]
	v_add_f64 v[98:99], v[231:232], v[98:99]
	;; [unrolled: 1-line block ×3, first 2 shown]
	v_mul_f64 v[104:105], v[202:203], s[26:27]
	v_fma_f64 v[217:218], v[122:123], s[18:19], v[223:224]
	v_fma_f64 v[219:220], v[184:185], s[52:53], v[227:228]
	v_add_f64 v[229:230], v[30:31], v[229:230]
	v_mul_f64 v[231:232], v[198:199], s[2:3]
	v_mul_f64 v[233:234], v[174:175], s[44:45]
	v_fma_f64 v[235:236], v[126:127], s[42:43], v[106:107]
	v_mul_f64 v[241:242], v[192:193], s[6:7]
	v_fma_f64 v[237:238], v[180:181], s[24:25], v[104:105]
	v_add_f64 v[217:218], v[28:29], v[217:218]
	v_mul_f64 v[243:244], v[168:169], s[48:49]
	v_add_f64 v[219:220], v[219:220], v[229:230]
	v_fma_f64 v[225:226], v[186:187], s[22:23], v[225:226]
	v_fma_f64 v[245:246], v[120:121], s[26:27], v[233:234]
	v_mul_f64 v[247:248], v[196:197], s[30:31]
	v_fma_f64 v[249:250], v[162:163], s[50:51], v[241:242]
	v_fma_f64 v[227:228], v[184:185], s[40:41], v[227:228]
	v_add_f64 v[217:218], v[235:236], v[217:218]
	v_fma_f64 v[235:236], v[170:171], s[14:15], v[231:232]
	v_add_f64 v[219:220], v[237:238], v[219:220]
	;; [unrolled: 2-line block ×3, first 2 shown]
	v_fma_f64 v[223:224], v[122:123], s[18:19], -v[223:224]
	v_fma_f64 v[221:222], v[152:153], s[28:29], -v[221:222]
	v_mul_f64 v[229:230], v[200:201], s[28:29]
	v_add_f64 v[217:218], v[245:246], v[217:218]
	v_mul_f64 v[245:246], v[164:165], s[20:21]
	v_add_f64 v[219:220], v[235:236], v[219:220]
	v_mul_f64 v[235:236], v[166:167], s[38:39]
	v_fma_f64 v[253:254], v[172:173], s[46:47], v[247:248]
	v_add_f64 v[225:226], v[227:228], v[225:226]
	v_fma_f64 v[106:107], v[126:127], s[42:43], -v[106:107]
	v_add_f64 v[223:224], v[28:29], v[223:224]
	v_add_f64 v[217:218], v[251:252], v[217:218]
	v_fma_f64 v[251:252], v[116:117], s[6:7], v[245:246]
	v_add_f64 v[219:220], v[249:250], v[219:220]
	v_fma_f64 v[104:105], v[180:181], s[44:45], v[104:105]
	v_add_f64 v[70:71], v[30:31], v[70:71]
	v_add_f64 v[68:69], v[28:29], v[68:69]
	;; [unrolled: 1-line block ×3, first 2 shown]
	v_mul_f64 v[221:222], v[208:209], s[8:9]
	v_fma_f64 v[237:238], v[182:183], s[36:37], v[229:230]
	v_mul_f64 v[249:250], v[176:177], s[54:55]
	v_fma_f64 v[227:228], v[114:115], s[30:31], v[235:236]
	v_add_f64 v[217:218], v[251:252], v[217:218]
	v_add_f64 v[219:220], v[253:254], v[219:220]
	v_fma_f64 v[231:232], v[170:171], s[48:49], v[231:232]
	v_fma_f64 v[233:234], v[120:121], s[26:27], -v[233:234]
	v_add_f64 v[106:107], v[106:107], v[223:224]
	v_add_f64 v[104:105], v[104:105], v[225:226]
	;; [unrolled: 1-line block ×4, first 2 shown]
	v_fma_f64 v[239:240], v[194:195], s[16:17], v[221:222]
	v_mul_f64 v[251:252], v[190:191], s[56:57]
	v_fma_f64 v[253:254], v[124:125], s[28:29], v[249:250]
	v_add_f64 v[217:218], v[227:228], v[217:218]
	v_add_f64 v[219:220], v[237:238], v[219:220]
	v_fma_f64 v[225:226], v[162:163], s[20:21], v[241:242]
	v_fma_f64 v[227:228], v[118:119], s[2:3], -v[243:244]
	v_mul_f64 v[237:238], v[206:207], s[6:7]
	v_add_f64 v[233:234], v[233:234], v[106:107]
	v_add_f64 v[104:105], v[231:232], v[104:105]
	v_add_f64 v[62:63], v[66:67], v[62:63]
	v_add_f64 v[66:67], v[64:65], v[60:61]
	v_fma_f64 v[223:224], v[152:153], s[8:9], v[251:252]
	v_add_f64 v[217:218], v[253:254], v[217:218]
	v_add_f64 v[106:107], v[239:240], v[219:220]
	v_fma_f64 v[219:220], v[172:173], s[38:39], v[247:248]
	v_fma_f64 v[231:232], v[116:117], s[6:7], -v[245:246]
	v_mul_f64 v[239:240], v[204:205], s[28:29]
	v_fma_f64 v[241:242], v[186:187], s[50:51], v[237:238]
	v_add_f64 v[227:228], v[227:228], v[233:234]
	v_add_f64 v[225:226], v[225:226], v[104:105]
	;; [unrolled: 1-line block ×4, first 2 shown]
	v_fma_f64 v[217:218], v[182:183], s[54:55], v[229:230]
	v_fma_f64 v[223:224], v[114:115], s[30:31], -v[235:236]
	v_mul_f64 v[229:230], v[202:203], s[42:43]
	v_fma_f64 v[233:234], v[184:185], s[54:55], v[239:240]
	v_add_f64 v[235:236], v[30:31], v[241:242]
	v_add_f64 v[227:228], v[231:232], v[227:228]
	;; [unrolled: 1-line block ×3, first 2 shown]
	v_mul_f64 v[225:226], v[188:189], s[20:21]
	v_fma_f64 v[237:238], v[186:187], s[20:21], v[237:238]
	v_add_f64 v[52:53], v[56:57], v[52:53]
	v_fma_f64 v[231:232], v[124:125], s[28:29], -v[249:250]
	v_mul_f64 v[241:242], v[198:199], s[26:27]
	v_fma_f64 v[243:244], v[180:181], s[40:41], v[229:230]
	v_add_f64 v[233:234], v[233:234], v[235:236]
	v_add_f64 v[223:224], v[223:224], v[227:228]
	;; [unrolled: 1-line block ×3, first 2 shown]
	v_mul_f64 v[227:228], v[178:179], s[36:37]
	v_fma_f64 v[219:220], v[122:123], s[6:7], v[225:226]
	v_fma_f64 v[239:240], v[184:185], s[36:37], v[239:240]
	v_add_f64 v[237:238], v[30:31], v[237:238]
	v_add_f64 v[48:49], v[52:53], v[48:49]
	v_fma_f64 v[221:222], v[194:195], s[56:57], v[221:222]
	v_fma_f64 v[235:236], v[152:153], s[8:9], -v[251:252]
	v_mul_f64 v[245:246], v[192:193], s[8:9]
	v_fma_f64 v[247:248], v[170:171], s[24:25], v[241:242]
	v_add_f64 v[233:234], v[243:244], v[233:234]
	v_add_f64 v[223:224], v[231:232], v[223:224]
	v_mul_f64 v[231:232], v[174:175], s[52:53]
	v_fma_f64 v[243:244], v[126:127], s[28:29], v[227:228]
	v_add_f64 v[249:250], v[28:29], v[219:220]
	v_add_f64 v[237:238], v[239:240], v[237:238]
	v_fma_f64 v[229:230], v[180:181], s[52:53], v[229:230]
	v_add_f64 v[44:45], v[48:49], v[44:45]
	v_add_f64 v[219:220], v[221:222], v[217:218]
	;; [unrolled: 3-line block ×3, first 2 shown]
	v_mul_f64 v[223:224], v[168:169], s[44:45]
	v_fma_f64 v[235:236], v[120:121], s[42:43], v[231:232]
	v_add_f64 v[243:244], v[243:244], v[249:250]
	v_fma_f64 v[241:242], v[170:171], s[44:45], v[241:242]
	v_add_f64 v[229:230], v[229:230], v[237:238]
	v_add_f64 v[40:41], v[44:45], v[40:41]
	buffer_load_dword v44, off, s[60:63], 0 ; 4-byte Folded Reload
	buffer_load_dword v45, off, s[60:63], 0 offset:4 ; 4-byte Folded Reload
	v_mul_f64 v[214:215], v[206:207], s[2:3]
	v_mul_f64 v[221:222], v[196:197], s[2:3]
	v_add_f64 v[233:234], v[251:252], v[233:234]
	v_fma_f64 v[225:226], v[122:123], s[6:7], -v[225:226]
	v_mul_f64 v[251:252], v[164:165], s[56:57]
	v_fma_f64 v[253:254], v[118:119], s[26:27], v[223:224]
	v_add_f64 v[235:236], v[235:236], v[243:244]
	v_fma_f64 v[245:246], v[162:163], s[56:57], v[245:246]
	v_add_f64 v[229:230], v[241:242], v[229:230]
	v_mul_f64 v[206:207], v[206:207], s[8:9]
	v_mul_f64 v[247:248], v[200:201], s[18:19]
	v_fma_f64 v[249:250], v[172:173], s[48:49], v[221:222]
	v_fma_f64 v[227:228], v[126:127], s[28:29], -v[227:228]
	v_add_f64 v[225:226], v[28:29], v[225:226]
	v_add_f64 v[235:236], v[253:254], v[235:236]
	v_fma_f64 v[253:254], v[116:117], s[8:9], v[251:252]
	v_add_f64 v[229:230], v[245:246], v[229:230]
	v_mul_f64 v[68:69], v[204:205], s[18:19]
	v_fma_f64 v[70:71], v[186:187], s[56:57], v[206:207]
	v_fma_f64 v[221:222], v[172:173], s[14:15], v[221:222]
	;; [unrolled: 1-line block ×3, first 2 shown]
	v_add_f64 v[233:234], v[249:250], v[233:234]
	v_add_f64 v[225:226], v[227:228], v[225:226]
	v_fma_f64 v[231:232], v[120:121], s[42:43], -v[231:232]
	v_add_f64 v[235:236], v[253:254], v[235:236]
	v_mul_f64 v[253:254], v[202:203], s[6:7]
	v_fma_f64 v[60:61], v[184:185], s[58:59], v[68:69]
	v_add_f64 v[64:65], v[30:31], v[70:71]
	v_mul_f64 v[70:71], v[202:203], s[28:29]
	v_mul_f64 v[202:203], v[208:209], s[30:31]
	v_add_f64 v[221:222], v[221:222], v[229:230]
	v_fma_f64 v[247:248], v[182:183], s[22:23], v[247:248]
	v_add_f64 v[233:234], v[243:244], v[233:234]
	v_add_f64 v[225:226], v[231:232], v[225:226]
	v_mul_f64 v[231:232], v[198:199], s[18:19]
	v_add_f64 v[60:61], v[60:61], v[64:65]
	v_fma_f64 v[64:65], v[180:181], s[54:55], v[70:71]
	v_mul_f64 v[198:199], v[198:199], s[42:43]
	v_mul_f64 v[188:189], v[188:189], s[16:17]
	v_add_f64 v[221:222], v[247:248], v[221:222]
	v_fma_f64 v[247:248], v[194:195], s[46:47], v[202:203]
	v_fma_f64 v[186:187], v[186:187], s[16:17], v[206:207]
	v_fma_f64 v[223:224], v[118:119], s[26:27], -v[223:224]
	v_fma_f64 v[202:203], v[194:195], s[38:39], v[202:203]
	v_add_f64 v[64:65], v[64:65], v[60:61]
	v_fma_f64 v[128:129], v[170:171], s[52:53], v[198:199]
	v_mul_f64 v[178:179], v[178:179], s[22:23]
	v_fma_f64 v[68:69], v[184:185], s[22:23], v[68:69]
	v_add_f64 v[60:61], v[247:248], v[233:234]
	v_fma_f64 v[233:234], v[122:123], s[8:9], v[188:189]
	v_add_f64 v[186:187], v[30:31], v[186:187]
	v_add_f64 v[58:59], v[62:63], v[58:59]
	v_mul_f64 v[249:250], v[166:167], s[14:15]
	v_mul_f64 v[241:242], v[192:193], s[26:27]
	v_add_f64 v[223:224], v[223:224], v[225:226]
	v_fma_f64 v[251:252], v[116:117], s[8:9], -v[251:252]
	v_mul_f64 v[206:207], v[208:209], s[42:43]
	v_add_f64 v[128:129], v[128:129], v[64:65]
	v_add_f64 v[64:65], v[202:203], v[221:222]
	v_mul_f64 v[202:203], v[208:209], s[2:3]
	v_fma_f64 v[70:71], v[180:181], s[36:37], v[70:71]
	v_fma_f64 v[180:181], v[126:127], s[18:19], v[178:179]
	v_add_f64 v[208:209], v[28:29], v[233:234]
	v_mul_f64 v[192:193], v[192:193], s[30:31]
	v_add_f64 v[68:69], v[68:69], v[186:187]
	v_add_f64 v[54:55], v[58:59], v[54:55]
	v_fma_f64 v[243:244], v[114:115], s[2:3], v[249:250]
	v_mul_f64 v[245:246], v[196:197], s[28:29]
	v_add_f64 v[223:224], v[251:252], v[223:224]
	v_fma_f64 v[249:250], v[114:115], s[2:3], -v[249:250]
	v_mul_f64 v[196:197], v[196:197], s[26:27]
	v_add_f64 v[180:181], v[180:181], v[208:209]
	v_fma_f64 v[208:209], v[162:163], s[38:39], v[192:193]
	v_fma_f64 v[170:171], v[170:171], s[40:41], v[198:199]
	v_add_f64 v[68:69], v[70:71], v[68:69]
	v_add_f64 v[50:51], v[54:55], v[50:51]
	v_fma_f64 v[162:163], v[162:163], s[46:47], v[192:193]
	v_add_f64 v[223:224], v[249:250], v[223:224]
	v_mul_f64 v[249:250], v[200:201], s[30:31]
	v_mul_f64 v[200:201], v[200:201], s[6:7]
	v_fma_f64 v[62:63], v[172:173], s[24:25], v[196:197]
	v_add_f64 v[128:129], v[208:209], v[128:129]
	v_add_f64 v[68:69], v[170:171], v[68:69]
	;; [unrolled: 1-line block ×3, first 2 shown]
	v_mul_f64 v[212:213], v[126:127], s[8:9]
	v_mul_f64 v[239:240], v[204:205], s[8:9]
	s_waitcnt vmcnt(0)
	v_add_f64 v[44:45], v[44:45], -v[136:137]
	v_fma_f64 v[70:71], v[182:183], s[20:21], v[200:201]
	v_add_f64 v[36:37], v[40:41], v[36:37]
	v_add_f64 v[62:63], v[62:63], v[128:129]
	v_fma_f64 v[128:129], v[172:173], s[44:45], v[196:197]
	v_add_f64 v[68:69], v[162:163], v[68:69]
	v_add_f64 v[42:43], v[46:47], v[42:43]
	v_fma_f64 v[46:47], v[122:123], s[8:9], -v[188:189]
	v_mul_f64 v[227:228], v[120:121], s[6:7]
	v_add_f64 v[122:123], v[148:149], v[239:240]
	v_add_f64 v[40:41], v[28:29], v[44:45]
	;; [unrolled: 1-line block ×3, first 2 shown]
	v_fma_f64 v[62:63], v[182:183], s[50:51], v[200:201]
	v_add_f64 v[68:69], v[128:129], v[68:69]
	v_add_f64 v[128:129], v[150:151], v[214:215]
	;; [unrolled: 1-line block ×3, first 2 shown]
	v_mul_f64 v[174:175], v[174:175], s[36:37]
	v_add_f64 v[28:29], v[28:29], v[46:47]
	v_add_f64 v[32:33], v[36:37], v[32:33]
	v_mul_f64 v[237:238], v[118:119], s[18:19]
	v_add_f64 v[44:45], v[140:141], v[253:254]
	v_add_f64 v[62:63], v[62:63], v[68:69]
	v_fma_f64 v[68:69], v[126:127], s[18:19], -v[178:179]
	v_add_f64 v[30:31], v[30:31], v[128:129]
	v_add_f64 v[126:127], v[212:213], -v[138:139]
	v_add_f64 v[34:35], v[38:39], v[34:35]
	v_add_f64 v[46:47], v[227:228], -v[210:211]
	v_mul_f64 v[168:169], v[168:169], s[40:41]
	v_fma_f64 v[42:43], v[120:121], s[28:29], -v[174:175]
	v_fma_f64 v[198:199], v[120:121], s[28:29], v[174:175]
	v_add_f64 v[28:29], v[68:69], v[28:29]
	v_add_f64 v[30:31], v[122:123], v[30:31]
	v_add_f64 v[36:37], v[126:127], v[40:41]
	v_add_f64 v[26:27], v[34:35], v[26:27]
	v_add_f64 v[24:25], v[32:33], v[24:25]
	v_add_f64 v[235:236], v[243:244], v[235:236]
	v_mul_f64 v[243:244], v[116:117], s[26:27]
	v_add_f64 v[40:41], v[142:143], v[231:232]
	v_mul_f64 v[66:67], v[164:165], s[46:47]
	v_add_f64 v[30:31], v[44:45], v[30:31]
	v_add_f64 v[44:45], v[237:238], -v[130:131]
	v_add_f64 v[32:33], v[46:47], v[36:37]
	v_fma_f64 v[38:39], v[118:119], s[42:43], -v[168:169]
	v_add_f64 v[28:29], v[42:43], v[28:29]
	v_fma_f64 v[164:165], v[118:119], s[42:43], v[168:169]
	v_add_f64 v[180:181], v[198:199], v[180:181]
	v_add_f64 v[22:23], v[26:27], v[22:23]
	;; [unrolled: 1-line block ×3, first 2 shown]
	v_mul_f64 v[225:226], v[114:115], s[28:29]
	v_mul_f64 v[251:252], v[176:177], s[22:23]
	v_add_f64 v[36:37], v[144:145], v[241:242]
	v_add_f64 v[30:31], v[40:41], v[30:31]
	v_add_f64 v[40:41], v[243:244], -v[132:133]
	v_add_f64 v[24:25], v[44:45], v[32:33]
	v_mul_f64 v[56:57], v[166:167], s[44:45]
	v_fma_f64 v[34:35], v[116:117], s[30:31], -v[66:67]
	v_add_f64 v[26:27], v[38:39], v[28:29]
	v_fma_f64 v[58:59], v[116:117], s[30:31], v[66:67]
	v_add_f64 v[164:165], v[164:165], v[180:181]
	v_add_f64 v[18:19], v[22:23], v[18:19]
	;; [unrolled: 1-line block ×3, first 2 shown]
	v_mul_f64 v[204:205], v[124:125], s[30:31]
	v_fma_f64 v[229:230], v[124:125], s[18:19], v[251:252]
	v_add_f64 v[32:33], v[146:147], v[245:246]
	v_add_f64 v[30:31], v[36:37], v[30:31]
	v_add_f64 v[36:37], v[225:226], -v[134:135]
	v_add_f64 v[20:21], v[40:41], v[24:25]
	v_mul_f64 v[52:53], v[176:177], s[50:51]
	v_fma_f64 v[28:29], v[114:115], s[26:27], -v[56:57]
	v_add_f64 v[22:23], v[34:35], v[26:27]
	v_fma_f64 v[251:252], v[124:125], s[18:19], -v[251:252]
	v_fma_f64 v[54:55], v[114:115], s[26:27], v[56:57]
	v_add_f64 v[58:59], v[58:59], v[164:165]
	v_add_f64 v[14:15], v[18:19], v[14:15]
	;; [unrolled: 1-line block ×4, first 2 shown]
	v_mul_f64 v[235:236], v[152:153], s[42:43]
	v_add_f64 v[26:27], v[158:159], v[249:250]
	v_add_f64 v[30:31], v[32:33], v[30:31]
	v_add_f64 v[32:33], v[204:205], -v[154:155]
	v_add_f64 v[16:17], v[36:37], v[20:21]
	v_mul_f64 v[48:49], v[190:191], s[48:49]
	v_fma_f64 v[24:25], v[124:125], s[6:7], -v[52:53]
	v_add_f64 v[18:19], v[28:29], v[22:23]
	v_add_f64 v[223:224], v[251:252], v[223:224]
	v_mul_f64 v[251:252], v[190:191], s[38:39]
	v_fma_f64 v[50:51], v[124:125], s[6:7], v[52:53]
	v_add_f64 v[54:55], v[54:55], v[58:59]
	v_add_f64 v[10:11], v[14:15], v[10:11]
	;; [unrolled: 1-line block ×5, first 2 shown]
	v_add_f64 v[28:29], v[235:236], -v[156:157]
	v_add_f64 v[30:31], v[32:33], v[16:17]
	v_fma_f64 v[58:59], v[194:195], s[48:49], v[202:203]
	v_fma_f64 v[20:21], v[152:153], s[2:3], -v[48:49]
	v_add_f64 v[18:19], v[24:25], v[18:19]
	v_fma_f64 v[221:222], v[152:153], s[30:31], -v[251:252]
	v_fma_f64 v[184:185], v[152:153], s[30:31], v[251:252]
	v_fma_f64 v[186:187], v[194:195], s[14:15], v[202:203]
	;; [unrolled: 1-line block ×3, first 2 shown]
	v_add_f64 v[32:33], v[50:51], v[54:55]
	v_add_f64 v[16:17], v[10:11], v[6:7]
	;; [unrolled: 1-line block ×8, first 2 shown]
	v_lshl_add_u32 v4, v110, 8, v216
	v_add_f64 v[58:59], v[184:185], v[229:230]
	v_add_f64 v[20:21], v[186:187], v[70:71]
	;; [unrolled: 1-line block ×3, first 2 shown]
	ds_write_b128 v4, v[14:17]
	ds_write_b128 v4, v[10:13] offset:16
	ds_write_b128 v4, v[6:9] offset:32
	;; [unrolled: 1-line block ×16, first 2 shown]
.LBB0_21:
	s_or_b64 exec, exec, s[34:35]
	s_movk_i32 s2, 0xf1
	v_mul_lo_u16_sdwa v9, v110, s2 dst_sel:DWORD dst_unused:UNUSED_PAD src0_sel:BYTE_0 src1_sel:DWORD
	v_lshrrev_b16_e32 v111, 12, v9
	v_mul_lo_u16_e32 v10, 17, v111
	v_sub_u16_e32 v10, v110, v10
	v_mov_b32_e32 v86, 4
	v_add_u16_e32 v87, 0x77, v110
	v_lshlrev_b32_sdwa v132, v86, v10 dst_sel:DWORD dst_unused:UNUSED_PAD src0_sel:DWORD src1_sel:BYTE_0
	v_mul_lo_u16_sdwa v10, v87, s2 dst_sel:DWORD dst_unused:UNUSED_PAD src0_sel:BYTE_0 src1_sel:DWORD
	v_add_u32_e32 v84, 0xee, v110
	v_lshrrev_b16_e32 v133, 12, v10
	s_mov_b32 s2, 0xf0f1
	v_mul_lo_u16_e32 v11, 17, v133
	v_mul_u32_u24_sdwa v85, v84, s2 dst_sel:DWORD dst_unused:UNUSED_PAD src0_sel:WORD_0 src1_sel:DWORD
	v_sub_u16_e32 v11, v87, v11
	v_lshrrev_b32_e32 v135, 20, v85
	v_lshlrev_b32_sdwa v134, v86, v11 dst_sel:DWORD dst_unused:UNUSED_PAD src0_sel:DWORD src1_sel:BYTE_0
	v_mul_lo_u16_e32 v11, 17, v135
	v_add_u32_e32 v8, 0x165, v110
	v_sub_u16_e32 v11, v84, v11
	v_lshlrev_b32_e32 v136, 4, v11
	v_mul_u32_u24_sdwa v11, v8, s2 dst_sel:DWORD dst_unused:UNUSED_PAD src0_sel:WORD_0 src1_sel:DWORD
	v_lshrrev_b32_e32 v137, 20, v11
	v_mul_lo_u16_e32 v12, 17, v137
	v_add_u32_e32 v7, 0x1dc, v110
	v_sub_u16_e32 v12, v8, v12
	v_lshlrev_b32_e32 v138, 4, v12
	v_mul_u32_u24_sdwa v12, v7, s2 dst_sel:DWORD dst_unused:UNUSED_PAD src0_sel:WORD_0 src1_sel:DWORD
	v_lshrrev_b32_e32 v139, 20, v12
	s_waitcnt lgkmcnt(0)
	s_barrier
	global_load_dwordx4 v[16:19], v132, s[12:13]
	global_load_dwordx4 v[20:23], v134, s[12:13]
	v_mul_lo_u16_e32 v13, 17, v139
	v_add_u32_e32 v6, 0x253, v110
	v_sub_u16_e32 v13, v7, v13
	v_lshlrev_b32_e32 v140, 4, v13
	v_mul_u32_u24_sdwa v13, v6, s2 dst_sel:DWORD dst_unused:UNUSED_PAD src0_sel:WORD_0 src1_sel:DWORD
	v_lshrrev_b32_e32 v141, 20, v13
	v_mul_lo_u16_e32 v14, 17, v141
	v_add_u32_e32 v5, 0x2ca, v110
	global_load_dwordx4 v[24:27], v136, s[12:13]
	global_load_dwordx4 v[28:31], v138, s[12:13]
	v_sub_u16_e32 v14, v6, v14
	v_lshlrev_b32_e32 v142, 4, v14
	v_mul_u32_u24_sdwa v14, v5, s2 dst_sel:DWORD dst_unused:UNUSED_PAD src0_sel:WORD_0 src1_sel:DWORD
	global_load_dwordx4 v[32:35], v140, s[12:13]
	global_load_dwordx4 v[36:39], v142, s[12:13]
	v_lshrrev_b32_e32 v143, 20, v14
	v_mul_lo_u16_e32 v15, 17, v143
	v_add_u32_e32 v4, 0x341, v110
	v_sub_u16_e32 v15, v5, v15
	v_lshlrev_b32_e32 v144, 4, v15
	v_mul_u32_u24_sdwa v15, v4, s2 dst_sel:DWORD dst_unused:UNUSED_PAD src0_sel:WORD_0 src1_sel:DWORD
	v_lshrrev_b32_e32 v145, 20, v15
	v_mul_lo_u16_e32 v40, 17, v145
	v_sub_u16_e32 v44, v4, v40
	global_load_dwordx4 v[40:43], v144, s[12:13]
	v_lshlrev_b32_e32 v146, 4, v44
	global_load_dwordx4 v[44:47], v146, s[12:13]
	ds_read_b128 v[48:51], v216
	ds_read_b128 v[52:55], v216 offset:1904
	ds_read_b128 v[56:59], v216 offset:15232
	;; [unrolled: 1-line block ×15, first 2 shown]
	s_waitcnt vmcnt(0) lgkmcnt(0)
	s_barrier
	v_cmp_gt_u32_e32 vcc, 34, v110
	v_mul_f64 v[122:123], v[58:59], v[18:19]
	v_mul_f64 v[18:19], v[56:57], v[18:19]
	v_mul_f64 v[124:125], v[62:63], v[22:23]
	v_mul_f64 v[22:23], v[60:61], v[22:23]
	v_fma_f64 v[56:57], v[56:57], v[16:17], -v[122:123]
	v_mul_f64 v[126:127], v[74:75], v[26:27]
	v_mul_f64 v[26:27], v[72:73], v[26:27]
	;; [unrolled: 1-line block ×4, first 2 shown]
	v_fma_f64 v[18:19], v[58:59], v[16:17], v[18:19]
	v_mul_f64 v[130:131], v[94:95], v[34:35]
	v_mul_f64 v[16:17], v[98:99], v[38:39]
	;; [unrolled: 1-line block ×3, first 2 shown]
	v_fma_f64 v[58:59], v[60:61], v[20:21], -v[124:125]
	v_fma_f64 v[22:23], v[62:63], v[20:21], v[22:23]
	v_mul_f64 v[20:21], v[96:97], v[38:39]
	v_fma_f64 v[60:61], v[72:73], v[24:25], -v[126:127]
	v_fma_f64 v[26:27], v[74:75], v[24:25], v[26:27]
	v_fma_f64 v[62:63], v[76:77], v[28:29], -v[128:129]
	v_fma_f64 v[30:31], v[78:79], v[28:29], v[30:31]
	v_fma_f64 v[72:73], v[92:93], v[32:33], -v[130:131]
	v_mul_f64 v[24:25], v[116:117], v[42:43]
	v_mul_f64 v[28:29], v[114:115], v[42:43]
	;; [unrolled: 1-line block ×4, first 2 shown]
	v_fma_f64 v[76:77], v[96:97], v[36:37], -v[16:17]
	v_add_f64 v[16:17], v[48:49], -v[56:57]
	v_fma_f64 v[74:75], v[94:95], v[32:33], v[34:35]
	v_add_f64 v[18:19], v[50:51], -v[18:19]
	v_fma_f64 v[78:79], v[98:99], v[36:37], v[20:21]
	v_add_f64 v[20:21], v[52:53], -v[58:59]
	v_add_f64 v[22:23], v[54:55], -v[22:23]
	v_fma_f64 v[92:93], v[114:115], v[40:41], -v[24:25]
	v_fma_f64 v[94:95], v[116:117], v[40:41], v[28:29]
	v_add_f64 v[24:25], v[64:65], -v[60:61]
	v_add_f64 v[26:27], v[66:67], -v[26:27]
	v_fma_f64 v[96:97], v[118:119], v[44:45], -v[38:39]
	v_fma_f64 v[98:99], v[120:121], v[44:45], v[42:43]
	v_add_f64 v[28:29], v[68:69], -v[62:63]
	v_add_f64 v[30:31], v[70:71], -v[30:31]
	v_fma_f64 v[32:33], v[48:49], 2.0, -v[16:17]
	v_add_f64 v[48:49], v[80:81], -v[72:73]
	v_fma_f64 v[34:35], v[50:51], 2.0, -v[18:19]
	;; [unrolled: 2-line block ×3, first 2 shown]
	v_fma_f64 v[38:39], v[54:55], 2.0, -v[22:23]
	v_add_f64 v[52:53], v[88:89], -v[76:77]
	v_add_f64 v[54:55], v[90:91], -v[78:79]
	v_fma_f64 v[40:41], v[64:65], 2.0, -v[24:25]
	v_fma_f64 v[42:43], v[66:67], 2.0, -v[26:27]
	v_add_f64 v[56:57], v[100:101], -v[92:93]
	v_add_f64 v[58:59], v[102:103], -v[94:95]
	v_fma_f64 v[44:45], v[68:69], 2.0, -v[28:29]
	;; [unrolled: 4-line block ×3, first 2 shown]
	v_mul_u32_u24_e32 v80, 0x220, v111
	v_add3_u32 v80, 0, v80, v132
	v_fma_f64 v[66:67], v[82:83], 2.0, -v[50:51]
	ds_write_b128 v80, v[32:35]
	ds_write_b128 v80, v[16:19] offset:272
	v_mul_u32_u24_e32 v16, 0x220, v133
	v_add3_u32 v16, 0, v16, v134
	v_fma_f64 v[68:69], v[88:89], 2.0, -v[52:53]
	v_fma_f64 v[70:71], v[90:91], 2.0, -v[54:55]
	ds_write_b128 v16, v[36:39]
	ds_write_b128 v16, v[20:23] offset:272
	v_mul_u32_u24_e32 v16, 0x220, v135
	v_add3_u32 v16, 0, v16, v136
	v_fma_f64 v[72:73], v[100:101], 2.0, -v[56:57]
	v_fma_f64 v[74:75], v[102:103], 2.0, -v[58:59]
	ds_write_b128 v16, v[40:43]
	ds_write_b128 v16, v[24:27] offset:272
	v_mul_u32_u24_e32 v16, 0x220, v137
	v_add3_u32 v16, 0, v16, v138
	v_lshrrev_b16_e32 v111, 13, v9
	v_fma_f64 v[76:77], v[104:105], 2.0, -v[60:61]
	v_fma_f64 v[78:79], v[106:107], 2.0, -v[62:63]
	ds_write_b128 v16, v[44:47]
	ds_write_b128 v16, v[28:31] offset:272
	v_mul_u32_u24_e32 v16, 0x220, v139
	v_mul_lo_u16_e32 v9, 34, v111
	v_add3_u32 v16, 0, v16, v140
	v_sub_u16_e32 v9, v110, v9
	v_lshrrev_b16_e32 v119, 13, v10
	ds_write_b128 v16, v[64:67]
	ds_write_b128 v16, v[48:51] offset:272
	v_mul_u32_u24_e32 v16, 0x220, v141
	v_lshlrev_b32_sdwa v118, v86, v9 dst_sel:DWORD dst_unused:UNUSED_PAD src0_sel:DWORD src1_sel:BYTE_0
	v_mul_lo_u16_e32 v9, 34, v119
	v_add3_u32 v16, 0, v16, v142
	v_sub_u16_e32 v9, v87, v9
	v_lshrrev_b32_e32 v121, 21, v85
	ds_write_b128 v16, v[68:71]
	ds_write_b128 v16, v[52:55] offset:272
	v_mul_u32_u24_e32 v16, 0x220, v143
	v_lshlrev_b32_sdwa v120, v86, v9 dst_sel:DWORD dst_unused:UNUSED_PAD src0_sel:DWORD src1_sel:BYTE_0
	v_mul_lo_u16_e32 v9, 34, v121
	v_add3_u32 v16, 0, v16, v144
	v_sub_u16_e32 v9, v84, v9
	v_lshrrev_b32_e32 v123, 21, v11
	ds_write_b128 v16, v[72:75]
	ds_write_b128 v16, v[56:59] offset:272
	v_mul_u32_u24_e32 v16, 0x220, v145
	v_lshlrev_b32_e32 v122, 4, v9
	v_mul_lo_u16_e32 v9, 34, v123
	v_add3_u32 v16, 0, v16, v146
	v_sub_u16_e32 v8, v8, v9
	ds_write_b128 v16, v[76:79]
	ds_write_b128 v16, v[60:63] offset:272
	s_waitcnt lgkmcnt(0)
	s_barrier
	global_load_dwordx4 v[16:19], v118, s[12:13] offset:272
	global_load_dwordx4 v[20:23], v120, s[12:13] offset:272
	v_lshlrev_b32_e32 v124, 4, v8
	global_load_dwordx4 v[8:11], v122, s[12:13] offset:272
	global_load_dwordx4 v[24:27], v124, s[12:13] offset:272
	v_lshrrev_b32_e32 v125, 21, v12
	v_mul_lo_u16_e32 v12, 34, v125
	v_sub_u16_e32 v7, v7, v12
	v_lshrrev_b32_e32 v127, 21, v13
	v_lshlrev_b32_e32 v126, 4, v7
	v_mul_lo_u16_e32 v7, 34, v127
	v_sub_u16_e32 v6, v6, v7
	v_lshrrev_b32_e32 v129, 21, v14
	v_lshlrev_b32_e32 v128, 4, v6
	;; [unrolled: 4-line block ×3, first 2 shown]
	v_mul_lo_u16_e32 v5, 34, v131
	v_sub_u16_e32 v12, v4, v5
	global_load_dwordx4 v[28:31], v126, s[12:13] offset:272
	global_load_dwordx4 v[32:35], v128, s[12:13] offset:272
	v_lshlrev_b32_e32 v132, 4, v12
	global_load_dwordx4 v[4:7], v130, s[12:13] offset:272
	global_load_dwordx4 v[12:15], v132, s[12:13] offset:272
	ds_read_b128 v[36:39], v216
	ds_read_b128 v[40:43], v216 offset:1904
	ds_read_b128 v[44:47], v216 offset:15232
	;; [unrolled: 1-line block ×15, first 2 shown]
	s_waitcnt vmcnt(0) lgkmcnt(0)
	s_barrier
	v_mul_f64 v[104:105], v[46:47], v[18:19]
	v_mul_f64 v[18:19], v[44:45], v[18:19]
	;; [unrolled: 1-line block ×8, first 2 shown]
	v_fma_f64 v[44:45], v[44:45], v[16:17], -v[104:105]
	v_fma_f64 v[16:17], v[46:47], v[16:17], v[18:19]
	v_fma_f64 v[18:19], v[48:49], v[20:21], -v[106:107]
	v_fma_f64 v[20:21], v[50:51], v[20:21], v[22:23]
	;; [unrolled: 2-line block ×4, first 2 shown]
	v_mul_f64 v[24:25], v[78:79], v[30:31]
	v_mul_f64 v[30:31], v[76:77], v[30:31]
	;; [unrolled: 1-line block ×8, first 2 shown]
	v_fma_f64 v[60:61], v[76:77], v[28:29], -v[24:25]
	v_fma_f64 v[62:63], v[78:79], v[28:29], v[30:31]
	v_fma_f64 v[64:65], v[80:81], v[32:33], -v[46:47]
	v_fma_f64 v[76:77], v[96:97], v[4:5], -v[48:49]
	v_fma_f64 v[4:5], v[98:99], v[4:5], v[6:7]
	v_fma_f64 v[6:7], v[100:101], v[12:13], -v[50:51]
	v_fma_f64 v[78:79], v[102:103], v[12:13], v[14:15]
	v_add_f64 v[12:13], v[36:37], -v[44:45]
	v_add_f64 v[14:15], v[38:39], -v[16:17]
	v_fma_f64 v[66:67], v[82:83], v[32:33], v[34:35]
	v_add_f64 v[16:17], v[40:41], -v[18:19]
	v_add_f64 v[18:19], v[42:43], -v[20:21]
	;; [unrolled: 1-line block ×7, first 2 shown]
	v_fma_f64 v[28:29], v[36:37], 2.0, -v[12:13]
	v_fma_f64 v[30:31], v[38:39], 2.0, -v[14:15]
	v_add_f64 v[46:47], v[70:71], -v[62:63]
	v_fma_f64 v[32:33], v[40:41], 2.0, -v[16:17]
	v_fma_f64 v[34:35], v[42:43], 2.0, -v[18:19]
	v_add_f64 v[48:49], v[72:73], -v[64:65]
	v_add_f64 v[50:51], v[74:75], -v[66:67]
	v_fma_f64 v[36:37], v[52:53], 2.0, -v[20:21]
	v_fma_f64 v[38:39], v[54:55], 2.0, -v[22:23]
	v_add_f64 v[52:53], v[88:89], -v[76:77]
	;; [unrolled: 4-line block ×3, first 2 shown]
	v_add_f64 v[10:11], v[94:95], -v[78:79]
	v_fma_f64 v[56:57], v[68:69], 2.0, -v[44:45]
	v_mul_u32_u24_e32 v68, 0x440, v111
	v_add3_u32 v68, 0, v68, v118
	v_fma_f64 v[58:59], v[70:71], 2.0, -v[46:47]
	ds_write_b128 v68, v[28:31]
	ds_write_b128 v68, v[12:15] offset:544
	v_mul_u32_u24_e32 v12, 0x440, v119
	v_add3_u32 v12, 0, v12, v120
	v_fma_f64 v[60:61], v[72:73], 2.0, -v[48:49]
	v_fma_f64 v[62:63], v[74:75], 2.0, -v[50:51]
	ds_write_b128 v12, v[32:35]
	ds_write_b128 v12, v[16:19] offset:544
	v_mul_u32_u24_e32 v12, 0x440, v121
	v_add3_u32 v12, 0, v12, v122
	v_fma_f64 v[64:65], v[88:89], 2.0, -v[52:53]
	;; [unrolled: 6-line block ×3, first 2 shown]
	v_fma_f64 v[6:7], v[94:95], 2.0, -v[10:11]
	ds_write_b128 v12, v[40:43]
	ds_write_b128 v12, v[24:27] offset:544
	v_mul_u32_u24_e32 v12, 0x440, v125
	v_add3_u32 v12, 0, v12, v126
	ds_write_b128 v12, v[56:59]
	ds_write_b128 v12, v[44:47] offset:544
	v_mul_u32_u24_e32 v12, 0x440, v127
	v_add3_u32 v12, 0, v12, v128
	;; [unrolled: 4-line block ×4, first 2 shown]
	ds_write_b128 v12, v[4:7]
	ds_write_b128 v12, v[8:11] offset:544
	s_waitcnt lgkmcnt(0)
	s_barrier
	ds_read_b128 v[36:39], v216
	ds_read_b128 v[28:31], v216 offset:1904
	ds_read_b128 v[60:63], v216 offset:4352
	;; [unrolled: 1-line block ×13, first 2 shown]
                                        ; implicit-def: $vgpr26_vgpr27
                                        ; implicit-def: $vgpr22_vgpr23
                                        ; implicit-def: $vgpr18_vgpr19
                                        ; implicit-def: $vgpr14_vgpr15
	s_and_saveexec_b64 s[2:3], vcc
	s_cbranch_execz .LBB0_23
; %bb.22:
	ds_read_b128 v[4:7], v216 offset:3808
	ds_read_b128 v[8:11], v216 offset:8160
	;; [unrolled: 1-line block ×7, first 2 shown]
.LBB0_23:
	s_or_b64 exec, exec, s[2:3]
	s_movk_i32 s2, 0x44
	v_add_u32_e32 v88, 0xffffffbc, v110
	v_cmp_gt_u32_e64 s[2:3], s2, v110
	v_cndmask_b32_e64 v88, v88, v110, s[2:3]
	v_mul_i32_i24_e32 v89, 6, v88
	v_mov_b32_e32 v90, 0
	v_lshlrev_b64 v[89:90], 4, v[89:90]
	v_mov_b32_e32 v91, s13
	v_add_co_u32_e64 v105, s[2:3], s12, v89
	v_addc_co_u32_e64 v106, s[2:3], v91, v90, s[2:3]
	global_load_dwordx4 v[89:92], v[105:106], off offset:832
	global_load_dwordx4 v[93:96], v[105:106], off offset:816
	global_load_dwordx4 v[97:100], v[105:106], off offset:864
	global_load_dwordx4 v[101:104], v[105:106], off offset:848
	global_load_dwordx4 v[114:117], v[105:106], off offset:896
	global_load_dwordx4 v[118:121], v[105:106], off offset:880
	s_movk_i32 s2, 0x79
	v_mul_lo_u16_sdwa v105, v87, s2 dst_sel:DWORD dst_unused:UNUSED_PAD src0_sel:BYTE_0 src1_sel:DWORD
	v_lshrrev_b16_e32 v107, 13, v105
	v_mul_lo_u16_e32 v105, 0x44, v107
	v_sub_u16_e32 v87, v87, v105
	v_mov_b32_e32 v105, 6
	v_mul_u32_u24_sdwa v105, v87, v105 dst_sel:DWORD dst_unused:UNUSED_PAD src0_sel:BYTE_0 src1_sel:DWORD
	v_lshlrev_b32_e32 v105, 4, v105
	global_load_dwordx4 v[122:125], v105, s[12:13] offset:816
	global_load_dwordx4 v[126:129], v105, s[12:13] offset:832
	;; [unrolled: 1-line block ×6, first 2 shown]
	s_mov_b32 s14, 0x37e14327
	s_mov_b32 s16, 0x36b3c0b5
	;; [unrolled: 1-line block ×20, first 2 shown]
	s_movk_i32 s2, 0x43
	v_cmp_lt_u32_e64 s[2:3], s2, v110
	v_lshlrev_b32_e32 v88, 4, v88
	s_waitcnt vmcnt(0) lgkmcnt(0)
	s_barrier
	v_mul_f64 v[146:147], v[66:67], v[91:92]
	v_mul_f64 v[105:106], v[62:63], v[95:96]
	;; [unrolled: 1-line block ×16, first 2 shown]
	v_fma_f64 v[60:61], v[60:61], v[93:94], -v[105:106]
	v_fma_f64 v[62:63], v[62:63], v[93:94], v[95:96]
	v_fma_f64 v[64:65], v[64:65], v[89:90], -v[146:147]
	v_fma_f64 v[66:67], v[66:67], v[89:90], v[91:92]
	;; [unrolled: 2-line block ×4, first 2 shown]
	v_mul_f64 v[158:159], v[46:47], v[128:129]
	v_mul_f64 v[128:129], v[44:45], v[128:129]
	;; [unrolled: 1-line block ×4, first 2 shown]
	v_fma_f64 v[68:69], v[68:69], v[101:102], -v[148:149]
	v_fma_f64 v[70:71], v[70:71], v[101:102], v[103:104]
	v_fma_f64 v[72:73], v[72:73], v[97:98], -v[150:151]
	v_fma_f64 v[74:75], v[74:75], v[97:98], v[99:100]
	;; [unrolled: 2-line block ×4, first 2 shown]
	v_add_f64 v[40:41], v[60:61], v[80:81]
	v_add_f64 v[42:43], v[62:63], v[82:83]
	;; [unrolled: 1-line block ×4, first 2 shown]
	v_fma_f64 v[93:94], v[44:45], v[126:127], -v[158:159]
	v_fma_f64 v[95:96], v[46:47], v[126:127], v[128:129]
	v_fma_f64 v[101:102], v[52:53], v[134:135], -v[162:163]
	v_fma_f64 v[103:104], v[54:55], v[134:135], v[136:137]
	v_add_f64 v[44:45], v[60:61], -v[80:81]
	v_add_f64 v[46:47], v[62:63], -v[82:83]
	;; [unrolled: 1-line block ×4, first 2 shown]
	v_add_f64 v[60:61], v[68:69], v[72:73]
	v_add_f64 v[62:63], v[70:71], v[74:75]
	v_add_f64 v[64:65], v[72:73], -v[68:69]
	v_add_f64 v[66:67], v[74:75], -v[70:71]
	v_add_f64 v[68:69], v[48:49], v[40:41]
	v_add_f64 v[70:71], v[50:51], v[42:43]
	v_add_f64 v[72:73], v[48:49], -v[40:41]
	v_add_f64 v[74:75], v[50:51], -v[42:43]
	;; [unrolled: 1-line block ×6, first 2 shown]
	v_add_f64 v[76:77], v[64:65], v[52:53]
	v_add_f64 v[78:79], v[66:67], v[54:55]
	v_add_f64 v[80:81], v[64:65], -v[52:53]
	v_add_f64 v[82:83], v[66:67], -v[54:55]
	;; [unrolled: 1-line block ×4, first 2 shown]
	v_add_f64 v[60:61], v[60:61], v[68:69]
	v_add_f64 v[62:63], v[62:63], v[70:71]
	v_add_f64 v[64:65], v[44:45], -v[64:65]
	v_add_f64 v[66:67], v[46:47], -v[66:67]
	v_add_f64 v[44:45], v[76:77], v[44:45]
	v_add_f64 v[46:47], v[78:79], v[46:47]
	v_mul_f64 v[40:41], v[40:41], s[14:15]
	v_mul_f64 v[42:43], v[42:43], s[14:15]
	v_mul_f64 v[68:69], v[48:49], s[16:17]
	v_mul_f64 v[70:71], v[50:51], s[16:17]
	v_add_f64 v[36:37], v[36:37], v[60:61]
	v_add_f64 v[38:39], v[38:39], v[62:63]
	v_mul_f64 v[76:77], v[80:81], s[18:19]
	v_mul_f64 v[78:79], v[82:83], s[18:19]
	;; [unrolled: 1-line block ×8, first 2 shown]
	v_fma_f64 v[48:49], v[48:49], s[16:17], v[40:41]
	v_fma_f64 v[50:51], v[50:51], s[16:17], v[42:43]
	;; [unrolled: 1-line block ×4, first 2 shown]
	v_fma_f64 v[68:69], v[72:73], s[20:21], -v[68:69]
	v_fma_f64 v[70:71], v[74:75], s[20:21], -v[70:71]
	;; [unrolled: 1-line block ×4, first 2 shown]
	v_fma_f64 v[72:73], v[64:65], s[26:27], v[76:77]
	v_fma_f64 v[74:75], v[66:67], s[26:27], v[78:79]
	v_fma_f64 v[52:53], v[52:53], s[6:7], -v[76:77]
	v_fma_f64 v[54:55], v[54:55], s[6:7], -v[78:79]
	;; [unrolled: 1-line block ×5, first 2 shown]
	v_fma_f64 v[58:59], v[58:59], v[138:139], v[140:141]
	v_add_f64 v[76:77], v[48:49], v[60:61]
	v_add_f64 v[78:79], v[50:51], v[62:63]
	;; [unrolled: 1-line block ×6, first 2 shown]
	v_fma_f64 v[68:69], v[46:47], s[22:23], v[74:75]
	v_fma_f64 v[70:71], v[44:45], s[22:23], v[72:73]
	;; [unrolled: 1-line block ×6, first 2 shown]
	v_fma_f64 v[72:73], v[32:33], v[142:143], -v[166:167]
	v_fma_f64 v[74:75], v[34:35], v[142:143], v[144:145]
	v_add_f64 v[80:81], v[97:98], v[101:102]
	v_add_f64 v[82:83], v[99:100], v[103:104]
	;; [unrolled: 1-line block ×3, first 2 shown]
	v_add_f64 v[42:43], v[62:63], -v[64:65]
	v_add_f64 v[44:45], v[48:49], -v[54:55]
	v_add_f64 v[46:47], v[52:53], v[50:51]
	v_add_f64 v[48:49], v[54:55], v[48:49]
	v_add_f64 v[50:51], v[50:51], -v[52:53]
	v_add_f64 v[52:53], v[60:61], -v[66:67]
	v_add_f64 v[54:55], v[64:65], v[62:63]
	v_add_f64 v[60:61], v[89:90], v[72:73]
	v_add_f64 v[62:63], v[91:92], v[74:75]
	v_add_f64 v[64:65], v[89:90], -v[72:73]
	v_add_f64 v[66:67], v[91:92], -v[74:75]
	v_add_f64 v[72:73], v[93:94], v[56:57]
	v_add_f64 v[74:75], v[95:96], v[58:59]
	v_add_f64 v[56:57], v[93:94], -v[56:57]
	v_add_f64 v[58:59], v[95:96], -v[58:59]
	;; [unrolled: 1-line block ×4, first 2 shown]
	v_add_f64 v[32:33], v[68:69], v[76:77]
	v_add_f64 v[34:35], v[78:79], -v[70:71]
	v_add_f64 v[93:94], v[72:73], v[60:61]
	v_add_f64 v[95:96], v[74:75], v[62:63]
	v_add_f64 v[97:98], v[72:73], -v[60:61]
	v_add_f64 v[99:100], v[74:75], -v[62:63]
	;; [unrolled: 1-line block ×6, first 2 shown]
	v_add_f64 v[101:102], v[89:90], v[56:57]
	v_add_f64 v[103:104], v[91:92], v[58:59]
	v_add_f64 v[105:106], v[89:90], -v[56:57]
	v_add_f64 v[114:115], v[91:92], -v[58:59]
	v_add_f64 v[80:81], v[80:81], v[93:94]
	v_add_f64 v[82:83], v[82:83], v[95:96]
	v_add_f64 v[56:57], v[56:57], -v[64:65]
	v_add_f64 v[58:59], v[58:59], -v[66:67]
	v_add_f64 v[89:90], v[64:65], -v[89:90]
	v_add_f64 v[91:92], v[66:67], -v[91:92]
	v_add_f64 v[64:65], v[101:102], v[64:65]
	v_add_f64 v[66:67], v[103:104], v[66:67]
	;; [unrolled: 1-line block ×4, first 2 shown]
	v_mul_f64 v[60:61], v[60:61], s[14:15]
	v_mul_f64 v[62:63], v[62:63], s[14:15]
	;; [unrolled: 1-line block ×8, first 2 shown]
	v_fma_f64 v[80:81], v[80:81], s[8:9], v[28:29]
	v_fma_f64 v[82:83], v[82:83], s[8:9], v[30:31]
	;; [unrolled: 1-line block ×4, first 2 shown]
	v_fma_f64 v[93:94], v[97:98], s[20:21], -v[93:94]
	v_fma_f64 v[95:96], v[99:100], s[20:21], -v[95:96]
	;; [unrolled: 1-line block ×4, first 2 shown]
	v_fma_f64 v[97:98], v[89:90], s[26:27], v[101:102]
	v_fma_f64 v[99:100], v[91:92], s[26:27], v[103:104]
	v_fma_f64 v[89:90], v[89:90], s[28:29], -v[105:106]
	v_fma_f64 v[91:92], v[91:92], s[28:29], -v[114:115]
	;; [unrolled: 1-line block ×4, first 2 shown]
	v_add_f64 v[101:102], v[72:73], v[80:81]
	v_add_f64 v[103:104], v[74:75], v[82:83]
	;; [unrolled: 1-line block ×4, first 2 shown]
	v_fma_f64 v[93:94], v[66:67], s[22:23], v[99:100]
	v_fma_f64 v[95:96], v[64:65], s[22:23], v[97:98]
	v_add_f64 v[80:81], v[60:61], v[80:81]
	v_add_f64 v[82:83], v[62:63], v[82:83]
	v_fma_f64 v[91:92], v[66:67], s[22:23], v[91:92]
	v_fma_f64 v[89:90], v[64:65], s[22:23], v[89:90]
	v_fma_f64 v[97:98], v[66:67], s[22:23], v[58:59]
	v_fma_f64 v[99:100], v[64:65], s[22:23], v[56:57]
	v_add_f64 v[60:61], v[93:94], v[101:102]
	v_add_f64 v[62:63], v[103:104], -v[95:96]
	v_add_f64 v[56:57], v[76:77], -v[68:69]
	v_add_f64 v[58:59], v[70:71], v[78:79]
	v_add_f64 v[64:65], v[91:92], v[80:81]
	v_add_f64 v[66:67], v[82:83], -v[89:90]
	v_add_f64 v[68:69], v[72:73], -v[97:98]
	v_add_f64 v[70:71], v[99:100], v[74:75]
	v_add_f64 v[78:79], v[89:90], v[82:83]
	v_mov_b32_e32 v89, 0x1dc0
	v_add_f64 v[72:73], v[97:98], v[72:73]
	v_add_f64 v[74:75], v[74:75], -v[99:100]
	v_cndmask_b32_e64 v89, 0, v89, s[2:3]
	v_add_f64 v[76:77], v[80:81], -v[91:92]
	v_add3_u32 v88, 0, v89, v88
	v_add_f64 v[80:81], v[101:102], -v[93:94]
	v_add_f64 v[82:83], v[95:96], v[103:104]
	ds_write_b128 v88, v[36:39]
	ds_write_b128 v88, v[32:35] offset:1088
	ds_write_b128 v88, v[40:43] offset:2176
	;; [unrolled: 1-line block ×6, first 2 shown]
	v_mul_u32_u24_e32 v32, 0x1dc0, v107
	v_lshlrev_b32_sdwa v33, v86, v87 dst_sel:DWORD dst_unused:UNUSED_PAD src0_sel:DWORD src1_sel:BYTE_0
	v_add3_u32 v32, 0, v32, v33
	ds_write_b128 v32, v[28:31]
	ds_write_b128 v32, v[60:63] offset:1088
	ds_write_b128 v32, v[64:67] offset:2176
	;; [unrolled: 1-line block ×6, first 2 shown]
	s_and_saveexec_b64 s[2:3], vcc
	s_cbranch_execz .LBB0_25
; %bb.24:
	v_lshrrev_b32_e32 v28, 22, v85
	v_mul_lo_u16_e32 v28, 0x44, v28
	v_sub_u16_e32 v64, v84, v28
	v_mul_u32_u24_e32 v28, 6, v64
	v_lshlrev_b32_e32 v52, 4, v28
	global_load_dwordx4 v[28:31], v52, s[12:13] offset:864
	global_load_dwordx4 v[32:35], v52, s[12:13] offset:848
	;; [unrolled: 1-line block ×6, first 2 shown]
	s_waitcnt vmcnt(5)
	v_mul_f64 v[52:53], v[18:19], v[30:31]
	s_waitcnt vmcnt(4)
	v_mul_f64 v[54:55], v[14:15], v[34:35]
	;; [unrolled: 2-line block ×6, first 2 shown]
	v_mul_f64 v[38:39], v[0:1], v[38:39]
	v_mul_f64 v[42:43], v[20:21], v[42:43]
	;; [unrolled: 1-line block ×6, first 2 shown]
	v_fma_f64 v[0:1], v[0:1], v[36:37], -v[56:57]
	v_fma_f64 v[20:21], v[20:21], v[40:41], -v[58:59]
	;; [unrolled: 1-line block ×4, first 2 shown]
	v_fma_f64 v[2:3], v[2:3], v[36:37], v[38:39]
	v_fma_f64 v[22:23], v[22:23], v[40:41], v[42:43]
	;; [unrolled: 1-line block ×4, first 2 shown]
	v_fma_f64 v[16:17], v[16:17], v[28:29], -v[52:53]
	v_fma_f64 v[12:13], v[12:13], v[32:33], -v[54:55]
	v_fma_f64 v[14:15], v[14:15], v[32:33], v[34:35]
	v_fma_f64 v[18:19], v[18:19], v[28:29], v[30:31]
	v_add_f64 v[30:31], v[0:1], -v[20:21]
	v_add_f64 v[32:33], v[8:9], -v[24:25]
	v_add_f64 v[36:37], v[2:3], v[22:23]
	v_add_f64 v[38:39], v[10:11], v[26:27]
	;; [unrolled: 1-line block ×4, first 2 shown]
	v_add_f64 v[28:29], v[16:17], -v[12:13]
	v_add_f64 v[34:35], v[14:15], v[18:19]
	v_add_f64 v[12:13], v[12:13], v[16:17]
	v_add_f64 v[14:15], v[18:19], -v[14:15]
	v_add_f64 v[2:3], v[2:3], -v[22:23]
	;; [unrolled: 1-line block ×3, first 2 shown]
	v_add_f64 v[26:27], v[36:37], v[38:39]
	v_add_f64 v[42:43], v[0:1], v[8:9]
	;; [unrolled: 1-line block ×3, first 2 shown]
	v_add_f64 v[18:19], v[28:29], -v[30:31]
	v_add_f64 v[20:21], v[32:33], -v[28:29]
	;; [unrolled: 1-line block ×6, first 2 shown]
	v_add_f64 v[26:27], v[34:35], v[26:27]
	v_add_f64 v[12:13], v[12:13], v[42:43]
	v_add_f64 v[22:23], v[34:35], -v[36:37]
	v_add_f64 v[44:45], v[14:15], v[2:3]
	v_add_f64 v[30:31], v[30:31], -v[32:33]
	v_add_f64 v[36:37], v[36:37], -v[38:39]
	;; [unrolled: 1-line block ×5, first 2 shown]
	v_mul_f64 v[18:19], v[18:19], s[18:19]
	v_mul_f64 v[24:25], v[24:25], s[14:15]
	;; [unrolled: 1-line block ×4, first 2 shown]
	v_add_f64 v[2:3], v[6:7], v[26:27]
	v_add_f64 v[0:1], v[4:5], v[12:13]
	;; [unrolled: 1-line block ×3, first 2 shown]
	v_mul_f64 v[32:33], v[22:23], s[16:17]
	v_add_f64 v[10:11], v[44:45], v[10:11]
	v_mul_f64 v[44:45], v[30:31], s[6:7]
	v_mul_f64 v[46:47], v[38:39], s[6:7]
	;; [unrolled: 1-line block ×3, first 2 shown]
	v_fma_f64 v[48:49], v[20:21], s[26:27], v[18:19]
	v_fma_f64 v[22:23], v[22:23], s[16:17], v[24:25]
	;; [unrolled: 1-line block ×6, first 2 shown]
	v_fma_f64 v[20:21], v[20:21], s[28:29], -v[44:45]
	v_fma_f64 v[24:25], v[36:37], s[24:25], -v[24:25]
	;; [unrolled: 1-line block ×8, first 2 shown]
	v_fma_f64 v[34:35], v[16:17], s[22:23], v[48:49]
	v_fma_f64 v[4:5], v[10:11], s[22:23], v[4:5]
	v_add_f64 v[36:37], v[22:23], v[26:27]
	v_add_f64 v[38:39], v[6:7], v[12:13]
	v_fma_f64 v[20:21], v[16:17], s[22:23], v[20:21]
	v_fma_f64 v[16:17], v[16:17], s[22:23], v[18:19]
	v_add_f64 v[22:23], v[24:25], v[26:27]
	v_add_f64 v[18:19], v[32:33], v[26:27]
	v_fma_f64 v[32:33], v[10:11], s[22:23], v[14:15]
	v_add_f64 v[28:29], v[28:29], v[12:13]
	v_fma_f64 v[30:31], v[10:11], s[22:23], v[30:31]
	v_add_f64 v[8:9], v[8:9], v[12:13]
	v_add_f64 v[26:27], v[36:37], -v[34:35]
	v_add_f64 v[24:25], v[4:5], v[38:39]
	v_add_f64 v[10:11], v[20:21], v[22:23]
	v_add_f64 v[22:23], v[22:23], -v[20:21]
	v_add_f64 v[14:15], v[18:19], -v[16:17]
	v_add_f64 v[20:21], v[32:33], v[28:29]
	v_add_f64 v[18:19], v[16:17], v[18:19]
	v_add_f64 v[16:17], v[8:9], -v[30:31]
	v_add_f64 v[12:13], v[30:31], v[8:9]
	v_add_f64 v[8:9], v[28:29], -v[32:33]
	v_add_f64 v[6:7], v[34:35], v[36:37]
	v_add_f64 v[4:5], v[38:39], -v[4:5]
	v_lshl_add_u32 v28, v64, 4, 0
	ds_write_b128 v28, v[0:3] offset:22848
	ds_write_b128 v28, v[24:27] offset:23936
	;; [unrolled: 1-line block ×7, first 2 shown]
.LBB0_25:
	s_or_b64 exec, exec, s[2:3]
	v_mul_u32_u24_e32 v0, 3, v110
	v_lshlrev_b32_e32 v0, 4, v0
	v_mov_b32_e32 v1, s13
	v_add_co_u32_e32 v40, vcc, s12, v0
	v_addc_co_u32_e32 v41, vcc, 0, v1, vcc
	s_movk_i32 s2, 0x1cb0
	v_add_co_u32_e32 v12, vcc, s2, v40
	v_addc_co_u32_e32 v13, vcc, 0, v41, vcc
	s_movk_i32 s2, 0x1000
	v_add_co_u32_e32 v14, vcc, s2, v40
	v_addc_co_u32_e32 v15, vcc, 0, v41, vcc
	s_waitcnt lgkmcnt(0)
	s_barrier
	global_load_dwordx4 v[0:3], v[14:15], off offset:3248
	global_load_dwordx4 v[4:7], v[12:13], off offset:32
	;; [unrolled: 1-line block ×3, first 2 shown]
	s_movk_i32 s3, 0x3000
	v_add_co_u32_e32 v12, vcc, s3, v40
	s_movk_i32 s2, 0x3300
	v_addc_co_u32_e32 v13, vcc, 0, v41, vcc
	v_add_co_u32_e32 v24, vcc, s2, v40
	v_addc_co_u32_e32 v25, vcc, 0, v41, vcc
	s_movk_i32 s3, 0x4000
	global_load_dwordx4 v[12:15], v[12:13], off offset:768
	s_nop 0
	global_load_dwordx4 v[16:19], v[24:25], off offset:16
	global_load_dwordx4 v[20:23], v[24:25], off offset:32
	v_add_co_u32_e32 v24, vcc, s3, v40
	v_addc_co_u32_e32 v25, vcc, 0, v41, vcc
	global_load_dwordx4 v[24:27], v[24:25], off offset:2384
	s_movk_i32 s2, 0x4950
	v_add_co_u32_e32 v36, vcc, s2, v40
	v_addc_co_u32_e32 v37, vcc, 0, v41, vcc
	s_movk_i32 s3, 0x5000
	global_load_dwordx4 v[28:31], v[36:37], off offset:32
	global_load_dwordx4 v[32:35], v[36:37], off offset:16
	v_add_co_u32_e32 v36, vcc, s3, v40
	s_movk_i32 s2, 0x5fa0
	v_addc_co_u32_e32 v37, vcc, 0, v41, vcc
	v_add_co_u32_e32 v48, vcc, s2, v40
	global_load_dwordx4 v[36:39], v[36:37], off offset:4000
	v_addc_co_u32_e32 v49, vcc, 0, v41, vcc
	global_load_dwordx4 v[40:43], v[48:49], off offset:16
	global_load_dwordx4 v[44:47], v[48:49], off offset:32
	ds_read_b128 v[48:51], v216
	ds_read_b128 v[52:55], v216 offset:1904
	ds_read_b128 v[56:59], v216 offset:7616
	;; [unrolled: 1-line block ×15, first 2 shown]
	s_waitcnt vmcnt(0) lgkmcnt(0)
	s_barrier
	v_mul_f64 v[118:119], v[58:59], v[2:3]
	v_mul_f64 v[2:3], v[56:57], v[2:3]
	;; [unrolled: 1-line block ×6, first 2 shown]
	v_fma_f64 v[56:57], v[56:57], v[0:1], -v[118:119]
	v_fma_f64 v[0:1], v[58:59], v[0:1], v[2:3]
	v_fma_f64 v[2:3], v[64:65], v[8:9], -v[120:121]
	v_fma_f64 v[8:9], v[66:67], v[8:9], v[10:11]
	;; [unrolled: 2-line block ×3, first 2 shown]
	v_mul_f64 v[124:125], v[62:63], v[14:15]
	v_mul_f64 v[14:15], v[60:61], v[14:15]
	;; [unrolled: 1-line block ×8, first 2 shown]
	v_fma_f64 v[60:61], v[60:61], v[12:13], -v[124:125]
	v_fma_f64 v[12:13], v[62:63], v[12:13], v[14:15]
	v_fma_f64 v[14:15], v[68:69], v[16:17], -v[126:127]
	v_fma_f64 v[6:7], v[70:71], v[16:17], v[6:7]
	;; [unrolled: 2-line block ×4, first 2 shown]
	v_mul_f64 v[20:21], v[98:99], v[34:35]
	v_mul_f64 v[22:23], v[96:97], v[34:35]
	;; [unrolled: 1-line block ×4, first 2 shown]
	v_add_f64 v[4:5], v[0:1], -v[4:5]
	v_mul_f64 v[30:31], v[94:95], v[38:39]
	v_mul_f64 v[34:35], v[92:93], v[38:39]
	;; [unrolled: 1-line block ×4, first 2 shown]
	v_fma_f64 v[64:65], v[96:97], v[32:33], -v[20:21]
	v_fma_f64 v[32:33], v[98:99], v[32:33], v[22:23]
	v_fma_f64 v[66:67], v[104:105], v[28:29], -v[24:25]
	v_fma_f64 v[28:29], v[106:107], v[28:29], v[26:27]
	;; [unrolled: 2-line block ×4, first 2 shown]
	v_add_f64 v[20:21], v[48:49], -v[2:3]
	v_add_f64 v[22:23], v[50:51], -v[8:9]
	;; [unrolled: 1-line block ×7, first 2 shown]
	v_fma_f64 v[6:7], v[0:1], 2.0, -v[4:5]
	v_fma_f64 v[14:15], v[48:49], 2.0, -v[20:21]
	;; [unrolled: 1-line block ×8, first 2 shown]
	v_mul_f64 v[18:19], v[116:117], v[46:47]
	v_mul_f64 v[46:47], v[114:115], v[46:47]
	v_add_f64 v[4:5], v[20:21], -v[4:5]
	v_add_f64 v[0:1], v[14:15], -v[2:3]
	;; [unrolled: 1-line block ×3, first 2 shown]
	v_add_f64 v[6:7], v[22:23], v[8:9]
	v_add_f64 v[8:9], v[48:49], -v[10:11]
	v_add_f64 v[10:11], v[50:51], -v[12:13]
	v_fma_f64 v[52:53], v[114:115], v[44:45], -v[18:19]
	v_fma_f64 v[44:45], v[116:117], v[44:45], v[46:47]
	v_add_f64 v[54:55], v[80:81], -v[64:65]
	v_fma_f64 v[12:13], v[14:15], 2.0, -v[0:1]
	v_fma_f64 v[14:15], v[16:17], 2.0, -v[2:3]
	;; [unrolled: 1-line block ×6, first 2 shown]
	v_add_f64 v[56:57], v[82:83], -v[32:33]
	v_add_f64 v[46:47], v[58:59], -v[66:67]
	;; [unrolled: 1-line block ×8, first 2 shown]
	v_add_f64 v[26:27], v[42:43], v[26:27]
	v_fma_f64 v[52:53], v[80:81], 2.0, -v[54:55]
	v_fma_f64 v[66:67], v[82:83], 2.0, -v[56:57]
	;; [unrolled: 1-line block ×10, first 2 shown]
	v_add_f64 v[32:33], v[52:53], -v[32:33]
	v_add_f64 v[34:35], v[66:67], -v[36:37]
	;; [unrolled: 1-line block ×3, first 2 shown]
	v_add_f64 v[38:39], v[56:57], v[46:47]
	v_add_f64 v[40:41], v[58:59], -v[68:69]
	v_add_f64 v[42:43], v[62:63], -v[70:71]
	;; [unrolled: 1-line block ×3, first 2 shown]
	v_add_f64 v[46:47], v[64:65], v[50:51]
	v_fma_f64 v[48:49], v[52:53], 2.0, -v[32:33]
	v_fma_f64 v[50:51], v[66:67], 2.0, -v[34:35]
	v_fma_f64 v[52:53], v[54:55], 2.0, -v[36:37]
	v_fma_f64 v[54:55], v[56:57], 2.0, -v[38:39]
	v_fma_f64 v[56:57], v[58:59], 2.0, -v[40:41]
	v_fma_f64 v[58:59], v[62:63], 2.0, -v[42:43]
	v_fma_f64 v[60:61], v[60:61], 2.0, -v[44:45]
	v_fma_f64 v[62:63], v[64:65], 2.0, -v[46:47]
	ds_write_b128 v216, v[12:15]
	ds_write_b128 v216, v[16:19] offset:7616
	ds_write_b128 v216, v[0:3] offset:15232
	ds_write_b128 v216, v[4:7] offset:22848
	ds_write_b128 v216, v[20:23] offset:1904
	ds_write_b128 v216, v[28:31] offset:9520
	ds_write_b128 v216, v[8:11] offset:17136
	ds_write_b128 v216, v[24:27] offset:24752
	ds_write_b128 v216, v[48:51] offset:3808
	ds_write_b128 v216, v[52:55] offset:11424
	ds_write_b128 v216, v[32:35] offset:19040
	ds_write_b128 v216, v[36:39] offset:26656
	ds_write_b128 v216, v[56:59] offset:5712
	ds_write_b128 v216, v[60:63] offset:13328
	ds_write_b128 v216, v[40:43] offset:20944
	ds_write_b128 v216, v[44:47] offset:28560
	s_waitcnt lgkmcnt(0)
	s_barrier
	s_and_saveexec_b64 s[2:3], s[0:1]
	s_cbranch_execz .LBB0_27
; %bb.26:
	v_mul_lo_u32 v0, s5, v112
	v_mul_lo_u32 v1, s4, v113
	v_mad_u64_u32 v[4:5], s[0:1], s4, v112, 0
	v_mov_b32_e32 v6, s11
	v_lshl_add_u32 v10, v110, 4, 0
	v_add3_u32 v5, v5, v1, v0
	v_lshlrev_b64 v[4:5], 4, v[4:5]
	v_mov_b32_e32 v111, 0
	v_add_co_u32_e32 v7, vcc, s10, v4
	v_addc_co_u32_e32 v6, vcc, v6, v5, vcc
	v_lshlrev_b64 v[4:5], 4, v[108:109]
	ds_read_b128 v[0:3], v10
	v_add_co_u32_e32 v11, vcc, v7, v4
	v_addc_co_u32_e32 v12, vcc, v6, v5, vcc
	v_lshlrev_b64 v[4:5], 4, v[110:111]
	v_add_co_u32_e32 v8, vcc, v11, v4
	v_addc_co_u32_e32 v9, vcc, v12, v5, vcc
	ds_read_b128 v[4:7], v10 offset:1904
	s_waitcnt lgkmcnt(1)
	global_store_dwordx4 v[8:9], v[0:3], off
	s_nop 0
	v_add_u32_e32 v0, 0x77, v110
	v_mov_b32_e32 v1, v111
	v_lshlrev_b64 v[0:1], 4, v[0:1]
	v_add_co_u32_e32 v0, vcc, v11, v0
	v_addc_co_u32_e32 v1, vcc, v12, v1, vcc
	s_waitcnt lgkmcnt(0)
	global_store_dwordx4 v[0:1], v[4:7], off
	ds_read_b128 v[0:3], v10 offset:3808
	v_add_u32_e32 v4, 0xee, v110
	v_mov_b32_e32 v5, v111
	v_lshlrev_b64 v[4:5], 4, v[4:5]
	v_add_co_u32_e32 v8, vcc, v11, v4
	v_addc_co_u32_e32 v9, vcc, v12, v5, vcc
	ds_read_b128 v[4:7], v10 offset:5712
	s_waitcnt lgkmcnt(1)
	global_store_dwordx4 v[8:9], v[0:3], off
	s_nop 0
	v_add_u32_e32 v0, 0x165, v110
	v_mov_b32_e32 v1, v111
	v_lshlrev_b64 v[0:1], 4, v[0:1]
	v_add_co_u32_e32 v0, vcc, v11, v0
	v_addc_co_u32_e32 v1, vcc, v12, v1, vcc
	s_waitcnt lgkmcnt(0)
	global_store_dwordx4 v[0:1], v[4:7], off
	ds_read_b128 v[0:3], v10 offset:7616
	v_add_u32_e32 v4, 0x1dc, v110
	v_mov_b32_e32 v5, v111
	;; [unrolled: 17-line block ×7, first 2 shown]
	v_lshlrev_b64 v[4:5], 4, v[4:5]
	v_add_u32_e32 v110, 0x6f9, v110
	v_add_co_u32_e32 v8, vcc, v11, v4
	v_addc_co_u32_e32 v9, vcc, v12, v5, vcc
	ds_read_b128 v[4:7], v10 offset:28560
	s_waitcnt lgkmcnt(1)
	global_store_dwordx4 v[8:9], v[0:3], off
	s_nop 0
	v_lshlrev_b64 v[0:1], 4, v[110:111]
	v_add_co_u32_e32 v0, vcc, v11, v0
	v_addc_co_u32_e32 v1, vcc, v12, v1, vcc
	s_waitcnt lgkmcnt(0)
	global_store_dwordx4 v[0:1], v[4:7], off
.LBB0_27:
	s_endpgm
	.section	.rodata,"a",@progbits
	.p2align	6, 0x0
	.amdhsa_kernel fft_rtc_fwd_len1904_factors_17_2_2_7_4_wgs_119_tpt_119_halfLds_dp_op_CI_CI_unitstride_sbrr_C2R_dirReg
		.amdhsa_group_segment_fixed_size 0
		.amdhsa_private_segment_fixed_size 12
		.amdhsa_kernarg_size 104
		.amdhsa_user_sgpr_count 6
		.amdhsa_user_sgpr_private_segment_buffer 1
		.amdhsa_user_sgpr_dispatch_ptr 0
		.amdhsa_user_sgpr_queue_ptr 0
		.amdhsa_user_sgpr_kernarg_segment_ptr 1
		.amdhsa_user_sgpr_dispatch_id 0
		.amdhsa_user_sgpr_flat_scratch_init 0
		.amdhsa_user_sgpr_private_segment_size 0
		.amdhsa_uses_dynamic_stack 0
		.amdhsa_system_sgpr_private_segment_wavefront_offset 1
		.amdhsa_system_sgpr_workgroup_id_x 1
		.amdhsa_system_sgpr_workgroup_id_y 0
		.amdhsa_system_sgpr_workgroup_id_z 0
		.amdhsa_system_sgpr_workgroup_info 0
		.amdhsa_system_vgpr_workitem_id 0
		.amdhsa_next_free_vgpr 255
		.amdhsa_next_free_sgpr 64
		.amdhsa_reserve_vcc 1
		.amdhsa_reserve_flat_scratch 0
		.amdhsa_float_round_mode_32 0
		.amdhsa_float_round_mode_16_64 0
		.amdhsa_float_denorm_mode_32 3
		.amdhsa_float_denorm_mode_16_64 3
		.amdhsa_dx10_clamp 1
		.amdhsa_ieee_mode 1
		.amdhsa_fp16_overflow 0
		.amdhsa_exception_fp_ieee_invalid_op 0
		.amdhsa_exception_fp_denorm_src 0
		.amdhsa_exception_fp_ieee_div_zero 0
		.amdhsa_exception_fp_ieee_overflow 0
		.amdhsa_exception_fp_ieee_underflow 0
		.amdhsa_exception_fp_ieee_inexact 0
		.amdhsa_exception_int_div_zero 0
	.end_amdhsa_kernel
	.text
.Lfunc_end0:
	.size	fft_rtc_fwd_len1904_factors_17_2_2_7_4_wgs_119_tpt_119_halfLds_dp_op_CI_CI_unitstride_sbrr_C2R_dirReg, .Lfunc_end0-fft_rtc_fwd_len1904_factors_17_2_2_7_4_wgs_119_tpt_119_halfLds_dp_op_CI_CI_unitstride_sbrr_C2R_dirReg
                                        ; -- End function
	.section	.AMDGPU.csdata,"",@progbits
; Kernel info:
; codeLenInByte = 17700
; NumSgprs: 68
; NumVgprs: 255
; ScratchSize: 12
; MemoryBound: 0
; FloatMode: 240
; IeeeMode: 1
; LDSByteSize: 0 bytes/workgroup (compile time only)
; SGPRBlocks: 8
; VGPRBlocks: 63
; NumSGPRsForWavesPerEU: 68
; NumVGPRsForWavesPerEU: 255
; Occupancy: 1
; WaveLimiterHint : 1
; COMPUTE_PGM_RSRC2:SCRATCH_EN: 1
; COMPUTE_PGM_RSRC2:USER_SGPR: 6
; COMPUTE_PGM_RSRC2:TRAP_HANDLER: 0
; COMPUTE_PGM_RSRC2:TGID_X_EN: 1
; COMPUTE_PGM_RSRC2:TGID_Y_EN: 0
; COMPUTE_PGM_RSRC2:TGID_Z_EN: 0
; COMPUTE_PGM_RSRC2:TIDIG_COMP_CNT: 0
	.type	__hip_cuid_c8f06f142038c6ae,@object ; @__hip_cuid_c8f06f142038c6ae
	.section	.bss,"aw",@nobits
	.globl	__hip_cuid_c8f06f142038c6ae
__hip_cuid_c8f06f142038c6ae:
	.byte	0                               ; 0x0
	.size	__hip_cuid_c8f06f142038c6ae, 1

	.ident	"AMD clang version 19.0.0git (https://github.com/RadeonOpenCompute/llvm-project roc-6.4.0 25133 c7fe45cf4b819c5991fe208aaa96edf142730f1d)"
	.section	".note.GNU-stack","",@progbits
	.addrsig
	.addrsig_sym __hip_cuid_c8f06f142038c6ae
	.amdgpu_metadata
---
amdhsa.kernels:
  - .args:
      - .actual_access:  read_only
        .address_space:  global
        .offset:         0
        .size:           8
        .value_kind:     global_buffer
      - .offset:         8
        .size:           8
        .value_kind:     by_value
      - .actual_access:  read_only
        .address_space:  global
        .offset:         16
        .size:           8
        .value_kind:     global_buffer
      - .actual_access:  read_only
        .address_space:  global
        .offset:         24
        .size:           8
        .value_kind:     global_buffer
      - .actual_access:  read_only
        .address_space:  global
        .offset:         32
        .size:           8
        .value_kind:     global_buffer
      - .offset:         40
        .size:           8
        .value_kind:     by_value
      - .actual_access:  read_only
        .address_space:  global
        .offset:         48
        .size:           8
        .value_kind:     global_buffer
      - .actual_access:  read_only
        .address_space:  global
        .offset:         56
        .size:           8
        .value_kind:     global_buffer
      - .offset:         64
        .size:           4
        .value_kind:     by_value
      - .actual_access:  read_only
        .address_space:  global
        .offset:         72
        .size:           8
        .value_kind:     global_buffer
      - .actual_access:  read_only
        .address_space:  global
        .offset:         80
        .size:           8
        .value_kind:     global_buffer
      - .actual_access:  read_only
        .address_space:  global
        .offset:         88
        .size:           8
        .value_kind:     global_buffer
      - .actual_access:  write_only
        .address_space:  global
        .offset:         96
        .size:           8
        .value_kind:     global_buffer
    .group_segment_fixed_size: 0
    .kernarg_segment_align: 8
    .kernarg_segment_size: 104
    .language:       OpenCL C
    .language_version:
      - 2
      - 0
    .max_flat_workgroup_size: 119
    .name:           fft_rtc_fwd_len1904_factors_17_2_2_7_4_wgs_119_tpt_119_halfLds_dp_op_CI_CI_unitstride_sbrr_C2R_dirReg
    .private_segment_fixed_size: 12
    .sgpr_count:     68
    .sgpr_spill_count: 0
    .symbol:         fft_rtc_fwd_len1904_factors_17_2_2_7_4_wgs_119_tpt_119_halfLds_dp_op_CI_CI_unitstride_sbrr_C2R_dirReg.kd
    .uniform_work_group_size: 1
    .uses_dynamic_stack: false
    .vgpr_count:     255
    .vgpr_spill_count: 2
    .wavefront_size: 64
amdhsa.target:   amdgcn-amd-amdhsa--gfx906
amdhsa.version:
  - 1
  - 2
...

	.end_amdgpu_metadata
